;; amdgpu-corpus repo=ROCm/rocFFT kind=compiled arch=gfx1201 opt=O3
	.text
	.amdgcn_target "amdgcn-amd-amdhsa--gfx1201"
	.amdhsa_code_object_version 6
	.protected	fft_rtc_back_len3750_factors_3_5_5_10_5_wgs_125_tpt_125_halfLds_dp_op_CI_CI_unitstride_sbrr_R2C_dirReg ; -- Begin function fft_rtc_back_len3750_factors_3_5_5_10_5_wgs_125_tpt_125_halfLds_dp_op_CI_CI_unitstride_sbrr_R2C_dirReg
	.globl	fft_rtc_back_len3750_factors_3_5_5_10_5_wgs_125_tpt_125_halfLds_dp_op_CI_CI_unitstride_sbrr_R2C_dirReg
	.p2align	8
	.type	fft_rtc_back_len3750_factors_3_5_5_10_5_wgs_125_tpt_125_halfLds_dp_op_CI_CI_unitstride_sbrr_R2C_dirReg,@function
fft_rtc_back_len3750_factors_3_5_5_10_5_wgs_125_tpt_125_halfLds_dp_op_CI_CI_unitstride_sbrr_R2C_dirReg: ; @fft_rtc_back_len3750_factors_3_5_5_10_5_wgs_125_tpt_125_halfLds_dp_op_CI_CI_unitstride_sbrr_R2C_dirReg
; %bb.0:
	s_clause 0x2
	s_load_b128 s[8:11], s[0:1], 0x0
	s_load_b128 s[4:7], s[0:1], 0x58
	;; [unrolled: 1-line block ×3, first 2 shown]
	v_mul_u32_u24_e32 v1, 0x20d, v0
	v_mov_b32_e32 v3, 0
	s_delay_alu instid0(VALU_DEP_2) | instskip(NEXT) | instid1(VALU_DEP_1)
	v_lshrrev_b32_e32 v1, 16, v1
	v_add_nc_u32_e32 v5, ttmp9, v1
	v_mov_b32_e32 v1, 0
	v_mov_b32_e32 v2, 0
	;; [unrolled: 1-line block ×3, first 2 shown]
	s_wait_kmcnt 0x0
	v_cmp_lt_u64_e64 s2, s[10:11], 2
	s_delay_alu instid0(VALU_DEP_1)
	s_and_b32 vcc_lo, exec_lo, s2
	s_cbranch_vccnz .LBB0_8
; %bb.1:
	s_load_b64 s[2:3], s[0:1], 0x10
	v_mov_b32_e32 v1, 0
	v_mov_b32_e32 v2, 0
	s_add_nc_u64 s[16:17], s[14:15], 8
	s_add_nc_u64 s[18:19], s[12:13], 8
	s_mov_b64 s[20:21], 1
	s_delay_alu instid0(VALU_DEP_1)
	v_dual_mov_b32 v125, v2 :: v_dual_mov_b32 v124, v1
	s_wait_kmcnt 0x0
	s_add_nc_u64 s[22:23], s[2:3], 8
	s_mov_b32 s3, 0
.LBB0_2:                                ; =>This Inner Loop Header: Depth=1
	s_load_b64 s[24:25], s[22:23], 0x0
                                        ; implicit-def: $vgpr126_vgpr127
	s_mov_b32 s2, exec_lo
	s_wait_kmcnt 0x0
	v_or_b32_e32 v4, s25, v6
	s_delay_alu instid0(VALU_DEP_1)
	v_cmpx_ne_u64_e32 0, v[3:4]
	s_wait_alu 0xfffe
	s_xor_b32 s26, exec_lo, s2
	s_cbranch_execz .LBB0_4
; %bb.3:                                ;   in Loop: Header=BB0_2 Depth=1
	s_cvt_f32_u32 s2, s24
	s_cvt_f32_u32 s27, s25
	s_sub_nc_u64 s[30:31], 0, s[24:25]
	s_wait_alu 0xfffe
	s_delay_alu instid0(SALU_CYCLE_1) | instskip(SKIP_1) | instid1(SALU_CYCLE_2)
	s_fmamk_f32 s2, s27, 0x4f800000, s2
	s_wait_alu 0xfffe
	v_s_rcp_f32 s2, s2
	s_delay_alu instid0(TRANS32_DEP_1) | instskip(SKIP_1) | instid1(SALU_CYCLE_2)
	s_mul_f32 s2, s2, 0x5f7ffffc
	s_wait_alu 0xfffe
	s_mul_f32 s27, s2, 0x2f800000
	s_wait_alu 0xfffe
	s_delay_alu instid0(SALU_CYCLE_2) | instskip(SKIP_1) | instid1(SALU_CYCLE_2)
	s_trunc_f32 s27, s27
	s_wait_alu 0xfffe
	s_fmamk_f32 s2, s27, 0xcf800000, s2
	s_cvt_u32_f32 s29, s27
	s_wait_alu 0xfffe
	s_delay_alu instid0(SALU_CYCLE_1) | instskip(SKIP_1) | instid1(SALU_CYCLE_2)
	s_cvt_u32_f32 s28, s2
	s_wait_alu 0xfffe
	s_mul_u64 s[34:35], s[30:31], s[28:29]
	s_wait_alu 0xfffe
	s_mul_hi_u32 s37, s28, s35
	s_mul_i32 s36, s28, s35
	s_mul_hi_u32 s2, s28, s34
	s_mul_i32 s33, s29, s34
	s_wait_alu 0xfffe
	s_add_nc_u64 s[36:37], s[2:3], s[36:37]
	s_mul_hi_u32 s27, s29, s34
	s_mul_hi_u32 s38, s29, s35
	s_add_co_u32 s2, s36, s33
	s_wait_alu 0xfffe
	s_add_co_ci_u32 s2, s37, s27
	s_mul_i32 s34, s29, s35
	s_add_co_ci_u32 s35, s38, 0
	s_wait_alu 0xfffe
	s_add_nc_u64 s[34:35], s[2:3], s[34:35]
	s_wait_alu 0xfffe
	v_add_co_u32 v4, s2, s28, s34
	s_delay_alu instid0(VALU_DEP_1) | instskip(SKIP_1) | instid1(VALU_DEP_1)
	s_cmp_lg_u32 s2, 0
	s_add_co_ci_u32 s29, s29, s35
	v_readfirstlane_b32 s28, v4
	s_wait_alu 0xfffe
	s_delay_alu instid0(VALU_DEP_1)
	s_mul_u64 s[30:31], s[30:31], s[28:29]
	s_wait_alu 0xfffe
	s_mul_hi_u32 s35, s28, s31
	s_mul_i32 s34, s28, s31
	s_mul_hi_u32 s2, s28, s30
	s_mul_i32 s33, s29, s30
	s_wait_alu 0xfffe
	s_add_nc_u64 s[34:35], s[2:3], s[34:35]
	s_mul_hi_u32 s27, s29, s30
	s_mul_hi_u32 s28, s29, s31
	s_wait_alu 0xfffe
	s_add_co_u32 s2, s34, s33
	s_add_co_ci_u32 s2, s35, s27
	s_mul_i32 s30, s29, s31
	s_add_co_ci_u32 s31, s28, 0
	s_wait_alu 0xfffe
	s_add_nc_u64 s[30:31], s[2:3], s[30:31]
	s_wait_alu 0xfffe
	v_add_co_u32 v4, s2, v4, s30
	s_delay_alu instid0(VALU_DEP_1) | instskip(SKIP_1) | instid1(VALU_DEP_1)
	s_cmp_lg_u32 s2, 0
	s_add_co_ci_u32 s2, s29, s31
	v_mul_hi_u32 v13, v5, v4
	s_wait_alu 0xfffe
	v_mad_co_u64_u32 v[7:8], null, v5, s2, 0
	v_mad_co_u64_u32 v[9:10], null, v6, v4, 0
	;; [unrolled: 1-line block ×3, first 2 shown]
	s_delay_alu instid0(VALU_DEP_3) | instskip(SKIP_1) | instid1(VALU_DEP_4)
	v_add_co_u32 v4, vcc_lo, v13, v7
	s_wait_alu 0xfffd
	v_add_co_ci_u32_e32 v7, vcc_lo, 0, v8, vcc_lo
	s_delay_alu instid0(VALU_DEP_2) | instskip(SKIP_1) | instid1(VALU_DEP_2)
	v_add_co_u32 v4, vcc_lo, v4, v9
	s_wait_alu 0xfffd
	v_add_co_ci_u32_e32 v4, vcc_lo, v7, v10, vcc_lo
	s_wait_alu 0xfffd
	v_add_co_ci_u32_e32 v7, vcc_lo, 0, v12, vcc_lo
	s_delay_alu instid0(VALU_DEP_2) | instskip(SKIP_1) | instid1(VALU_DEP_2)
	v_add_co_u32 v4, vcc_lo, v4, v11
	s_wait_alu 0xfffd
	v_add_co_ci_u32_e32 v9, vcc_lo, 0, v7, vcc_lo
	s_delay_alu instid0(VALU_DEP_2) | instskip(SKIP_1) | instid1(VALU_DEP_3)
	v_mul_lo_u32 v10, s25, v4
	v_mad_co_u64_u32 v[7:8], null, s24, v4, 0
	v_mul_lo_u32 v11, s24, v9
	s_delay_alu instid0(VALU_DEP_2) | instskip(NEXT) | instid1(VALU_DEP_2)
	v_sub_co_u32 v7, vcc_lo, v5, v7
	v_add3_u32 v8, v8, v11, v10
	s_delay_alu instid0(VALU_DEP_1) | instskip(SKIP_1) | instid1(VALU_DEP_1)
	v_sub_nc_u32_e32 v10, v6, v8
	s_wait_alu 0xfffd
	v_subrev_co_ci_u32_e64 v10, s2, s25, v10, vcc_lo
	v_add_co_u32 v11, s2, v4, 2
	s_wait_alu 0xf1ff
	v_add_co_ci_u32_e64 v12, s2, 0, v9, s2
	v_sub_co_u32 v13, s2, v7, s24
	v_sub_co_ci_u32_e32 v8, vcc_lo, v6, v8, vcc_lo
	s_wait_alu 0xf1ff
	v_subrev_co_ci_u32_e64 v10, s2, 0, v10, s2
	s_delay_alu instid0(VALU_DEP_3) | instskip(NEXT) | instid1(VALU_DEP_3)
	v_cmp_le_u32_e32 vcc_lo, s24, v13
	v_cmp_eq_u32_e64 s2, s25, v8
	s_wait_alu 0xfffd
	v_cndmask_b32_e64 v13, 0, -1, vcc_lo
	v_cmp_le_u32_e32 vcc_lo, s25, v10
	s_wait_alu 0xfffd
	v_cndmask_b32_e64 v14, 0, -1, vcc_lo
	v_cmp_le_u32_e32 vcc_lo, s24, v7
	;; [unrolled: 3-line block ×3, first 2 shown]
	s_wait_alu 0xfffd
	v_cndmask_b32_e64 v15, 0, -1, vcc_lo
	v_cmp_eq_u32_e32 vcc_lo, s25, v10
	s_wait_alu 0xf1ff
	s_delay_alu instid0(VALU_DEP_2)
	v_cndmask_b32_e64 v7, v15, v7, s2
	s_wait_alu 0xfffd
	v_cndmask_b32_e32 v10, v14, v13, vcc_lo
	v_add_co_u32 v13, vcc_lo, v4, 1
	s_wait_alu 0xfffd
	v_add_co_ci_u32_e32 v14, vcc_lo, 0, v9, vcc_lo
	s_delay_alu instid0(VALU_DEP_3) | instskip(SKIP_1) | instid1(VALU_DEP_2)
	v_cmp_ne_u32_e32 vcc_lo, 0, v10
	s_wait_alu 0xfffd
	v_cndmask_b32_e32 v8, v14, v12, vcc_lo
	v_cndmask_b32_e32 v10, v13, v11, vcc_lo
	v_cmp_ne_u32_e32 vcc_lo, 0, v7
	s_wait_alu 0xfffd
	s_delay_alu instid0(VALU_DEP_2)
	v_dual_cndmask_b32 v127, v9, v8 :: v_dual_cndmask_b32 v126, v4, v10
.LBB0_4:                                ;   in Loop: Header=BB0_2 Depth=1
	s_wait_alu 0xfffe
	s_and_not1_saveexec_b32 s2, s26
	s_cbranch_execz .LBB0_6
; %bb.5:                                ;   in Loop: Header=BB0_2 Depth=1
	v_cvt_f32_u32_e32 v4, s24
	s_sub_co_i32 s26, 0, s24
	v_mov_b32_e32 v127, v3
	s_delay_alu instid0(VALU_DEP_2) | instskip(NEXT) | instid1(TRANS32_DEP_1)
	v_rcp_iflag_f32_e32 v4, v4
	v_mul_f32_e32 v4, 0x4f7ffffe, v4
	s_delay_alu instid0(VALU_DEP_1) | instskip(SKIP_1) | instid1(VALU_DEP_1)
	v_cvt_u32_f32_e32 v4, v4
	s_wait_alu 0xfffe
	v_mul_lo_u32 v7, s26, v4
	s_delay_alu instid0(VALU_DEP_1) | instskip(NEXT) | instid1(VALU_DEP_1)
	v_mul_hi_u32 v7, v4, v7
	v_add_nc_u32_e32 v4, v4, v7
	s_delay_alu instid0(VALU_DEP_1) | instskip(NEXT) | instid1(VALU_DEP_1)
	v_mul_hi_u32 v4, v5, v4
	v_mul_lo_u32 v7, v4, s24
	v_add_nc_u32_e32 v8, 1, v4
	s_delay_alu instid0(VALU_DEP_2) | instskip(NEXT) | instid1(VALU_DEP_1)
	v_sub_nc_u32_e32 v7, v5, v7
	v_subrev_nc_u32_e32 v9, s24, v7
	v_cmp_le_u32_e32 vcc_lo, s24, v7
	s_wait_alu 0xfffd
	s_delay_alu instid0(VALU_DEP_2) | instskip(NEXT) | instid1(VALU_DEP_1)
	v_dual_cndmask_b32 v7, v7, v9 :: v_dual_cndmask_b32 v4, v4, v8
	v_cmp_le_u32_e32 vcc_lo, s24, v7
	s_delay_alu instid0(VALU_DEP_2) | instskip(SKIP_1) | instid1(VALU_DEP_1)
	v_add_nc_u32_e32 v8, 1, v4
	s_wait_alu 0xfffd
	v_cndmask_b32_e32 v126, v4, v8, vcc_lo
.LBB0_6:                                ;   in Loop: Header=BB0_2 Depth=1
	s_wait_alu 0xfffe
	s_or_b32 exec_lo, exec_lo, s2
	v_mul_lo_u32 v4, v127, s24
	s_delay_alu instid0(VALU_DEP_2)
	v_mul_lo_u32 v9, v126, s25
	s_load_b64 s[26:27], s[18:19], 0x0
	v_mad_co_u64_u32 v[7:8], null, v126, s24, 0
	s_load_b64 s[24:25], s[16:17], 0x0
	s_add_nc_u64 s[20:21], s[20:21], 1
	s_add_nc_u64 s[16:17], s[16:17], 8
	s_wait_alu 0xfffe
	v_cmp_ge_u64_e64 s2, s[20:21], s[10:11]
	s_add_nc_u64 s[18:19], s[18:19], 8
	s_add_nc_u64 s[22:23], s[22:23], 8
	v_add3_u32 v4, v8, v9, v4
	v_sub_co_u32 v5, vcc_lo, v5, v7
	s_wait_alu 0xfffd
	s_delay_alu instid0(VALU_DEP_2) | instskip(SKIP_2) | instid1(VALU_DEP_1)
	v_sub_co_ci_u32_e32 v4, vcc_lo, v6, v4, vcc_lo
	s_and_b32 vcc_lo, exec_lo, s2
	s_wait_kmcnt 0x0
	v_mul_lo_u32 v6, s26, v4
	v_mul_lo_u32 v7, s27, v5
	v_mad_co_u64_u32 v[1:2], null, s26, v5, v[1:2]
	v_mul_lo_u32 v4, s24, v4
	v_mul_lo_u32 v8, s25, v5
	v_mad_co_u64_u32 v[124:125], null, s24, v5, v[124:125]
	s_delay_alu instid0(VALU_DEP_4) | instskip(NEXT) | instid1(VALU_DEP_2)
	v_add3_u32 v2, v7, v2, v6
	v_add3_u32 v125, v8, v125, v4
	s_wait_alu 0xfffe
	s_cbranch_vccnz .LBB0_9
; %bb.7:                                ;   in Loop: Header=BB0_2 Depth=1
	v_dual_mov_b32 v5, v126 :: v_dual_mov_b32 v6, v127
	s_branch .LBB0_2
.LBB0_8:
	v_dual_mov_b32 v125, v2 :: v_dual_mov_b32 v124, v1
	v_dual_mov_b32 v127, v6 :: v_dual_mov_b32 v126, v5
.LBB0_9:
	s_load_b64 s[0:1], s[0:1], 0x28
	v_mul_hi_u32 v3, 0x20c49bb, v0
	s_lshl_b64 s[10:11], s[10:11], 3
                                        ; implicit-def: $vgpr120
                                        ; implicit-def: $vgpr122
                                        ; implicit-def: $vgpr133
                                        ; implicit-def: $vgpr132
                                        ; implicit-def: $vgpr131
                                        ; implicit-def: $vgpr130
                                        ; implicit-def: $vgpr129
                                        ; implicit-def: $vgpr128
	s_wait_kmcnt 0x0
	v_cmp_gt_u64_e32 vcc_lo, s[0:1], v[126:127]
	v_cmp_le_u64_e64 s0, s[0:1], v[126:127]
	s_delay_alu instid0(VALU_DEP_1)
	s_and_saveexec_b32 s1, s0
	s_wait_alu 0xfffe
	s_xor_b32 s0, exec_lo, s1
; %bb.10:
	v_mul_u32_u24_e32 v1, 0x7d, v3
                                        ; implicit-def: $vgpr3
	s_delay_alu instid0(VALU_DEP_1) | instskip(NEXT) | instid1(VALU_DEP_1)
	v_sub_nc_u32_e32 v120, v0, v1
                                        ; implicit-def: $vgpr0
                                        ; implicit-def: $vgpr1_vgpr2
	v_add_nc_u32_e32 v122, 0x7d, v120
	v_add_nc_u32_e32 v133, 0xfa, v120
	;; [unrolled: 1-line block ×7, first 2 shown]
; %bb.11:
	s_wait_alu 0xfffe
	s_or_saveexec_b32 s1, s0
	s_add_nc_u64 s[2:3], s[14:15], s[10:11]
	s_wait_alu 0xfffe
	s_xor_b32 exec_lo, exec_lo, s1
	s_cbranch_execz .LBB0_13
; %bb.12:
	s_add_nc_u64 s[10:11], s[12:13], s[10:11]
	v_lshlrev_b64_e32 v[1:2], 4, v[1:2]
	s_load_b64 s[10:11], s[10:11], 0x0
	s_wait_kmcnt 0x0
	v_mul_lo_u32 v6, s11, v126
	v_mul_lo_u32 v7, s10, v127
	v_mad_co_u64_u32 v[4:5], null, s10, v126, 0
	s_delay_alu instid0(VALU_DEP_1) | instskip(SKIP_1) | instid1(VALU_DEP_2)
	v_add3_u32 v5, v5, v7, v6
	v_mul_u32_u24_e32 v6, 0x7d, v3
	v_lshlrev_b64_e32 v[3:4], 4, v[4:5]
	s_delay_alu instid0(VALU_DEP_2) | instskip(NEXT) | instid1(VALU_DEP_1)
	v_sub_nc_u32_e32 v120, v0, v6
	v_lshlrev_b32_e32 v121, 4, v120
	s_delay_alu instid0(VALU_DEP_3) | instskip(SKIP_1) | instid1(VALU_DEP_4)
	v_add_co_u32 v0, s0, s4, v3
	s_wait_alu 0xf1ff
	v_add_co_ci_u32_e64 v3, s0, s5, v4, s0
	v_add_nc_u32_e32 v122, 0x7d, v120
	s_delay_alu instid0(VALU_DEP_3) | instskip(SKIP_1) | instid1(VALU_DEP_3)
	v_add_co_u32 v0, s0, v0, v1
	s_wait_alu 0xf1ff
	v_add_co_ci_u32_e64 v1, s0, v3, v2, s0
	v_add_nc_u32_e32 v133, 0xfa, v120
	s_delay_alu instid0(VALU_DEP_3) | instskip(SKIP_1) | instid1(VALU_DEP_3)
	v_add_co_u32 v116, s0, v0, v121
	s_wait_alu 0xf1ff
	v_add_co_ci_u32_e64 v117, s0, 0, v1, s0
	s_clause 0x1d
	global_load_b128 v[0:3], v[116:117], off offset:2000
	global_load_b128 v[4:7], v[116:117], off offset:4000
	;; [unrolled: 1-line block ×28, first 2 shown]
	global_load_b128 v[112:115], v[116:117], off
	global_load_b128 v[116:119], v[116:117], off offset:58000
	v_add_nc_u32_e32 v132, 0x177, v120
	v_add_nc_u32_e32 v121, 0, v121
	;; [unrolled: 1-line block ×6, first 2 shown]
	s_wait_loadcnt 0x1d
	ds_store_b128 v121, v[0:3] offset:2000
	s_wait_loadcnt 0x1c
	ds_store_b128 v121, v[4:7] offset:4000
	;; [unrolled: 2-line block ×28, first 2 shown]
	s_wait_loadcnt 0x1
	ds_store_b128 v121, v[112:115]
	s_wait_loadcnt 0x0
	ds_store_b128 v121, v[116:119] offset:58000
.LBB0_13:
	s_or_b32 exec_lo, exec_lo, s1
	v_lshlrev_b32_e32 v121, 4, v120
	s_load_b64 s[2:3], s[2:3], 0x0
	global_wb scope:SCOPE_SE
	s_wait_dscnt 0x0
	s_wait_kmcnt 0x0
	s_barrier_signal -1
	s_barrier_wait -1
	v_add_nc_u32_e32 v136, 0, v121
	global_inv scope:SCOPE_SE
	s_mov_b32 s0, 0xe8584caa
	s_mov_b32 s1, 0xbfebb67a
	;; [unrolled: 1-line block ×3, first 2 shown]
	ds_load_b128 v[12:15], v136
	ds_load_b128 v[4:7], v136 offset:20000
	ds_load_b128 v[16:19], v136 offset:22000
	ds_load_b128 v[8:11], v136 offset:2000
	ds_load_b128 v[0:3], v136 offset:4000
	ds_load_b128 v[20:23], v136 offset:24000
	ds_load_b128 v[28:31], v136 offset:26000
	ds_load_b128 v[32:35], v136 offset:6000
	ds_load_b128 v[36:39], v136 offset:40000
	ds_load_b128 v[24:27], v136 offset:18000
	ds_load_b128 v[40:43], v136 offset:58000
	ds_load_b128 v[44:47], v136 offset:42000
	ds_load_b128 v[48:51], v136 offset:44000
	ds_load_b128 v[52:55], v136 offset:8000
	ds_load_b128 v[56:59], v136 offset:28000
	ds_load_b128 v[60:63], v136 offset:30000
	ds_load_b128 v[64:67], v136 offset:38000
	ds_load_b128 v[68:71], v136 offset:10000
	ds_load_b128 v[72:75], v136 offset:12000
	ds_load_b128 v[76:79], v136 offset:32000
	ds_load_b128 v[80:83], v136 offset:46000
	ds_load_b128 v[84:87], v136 offset:48000
	ds_load_b128 v[88:91], v136 offset:14000
	ds_load_b128 v[92:95], v136 offset:16000
	s_wait_dscnt 0x16
	v_add_f64_e32 v[104:105], v[12:13], v[4:5]
	v_add_f64_e32 v[106:107], v[14:15], v[6:7]
	s_wait_dscnt 0x14
	v_add_f64_e32 v[108:109], v[8:9], v[16:17]
	v_add_f64_e32 v[110:111], v[10:11], v[18:19]
	;; [unrolled: 3-line block ×3, first 2 shown]
	s_wait_dscnt 0x10
	v_add_f64_e32 v[116:117], v[32:33], v[28:29]
	s_wait_dscnt 0xf
	v_add_f64_e32 v[118:119], v[4:5], v[36:37]
	v_add_f64_e32 v[137:138], v[6:7], v[38:39]
	v_add_f64_e32 v[134:135], v[34:35], v[30:31]
	ds_load_b128 v[96:99], v136 offset:34000
	ds_load_b128 v[100:103], v136 offset:36000
	v_add_f64_e64 v[145:146], v[6:7], -v[38:39]
	v_add_f64_e64 v[149:150], v[4:5], -v[36:37]
	s_wait_dscnt 0xb
	v_add_f64_e32 v[139:140], v[52:53], v[56:57]
	v_add_f64_e32 v[141:142], v[54:55], v[58:59]
	;; [unrolled: 1-line block ×3, first 2 shown]
	s_wait_dscnt 0x8
	v_add_f64_e32 v[143:144], v[68:69], v[60:61]
	v_add_f64_e32 v[147:148], v[70:71], v[62:63]
	s_wait_dscnt 0x6
	v_add_f64_e32 v[163:164], v[72:73], v[76:77]
	v_add_f64_e32 v[167:168], v[74:75], v[78:79]
	v_add_f64_e64 v[153:154], v[18:19], -v[46:47]
	v_add_f64_e32 v[155:156], v[18:19], v[46:47]
	v_add_f64_e64 v[157:158], v[16:17], -v[44:45]
	;; [unrolled: 2-line block ×4, first 2 shown]
	s_wait_dscnt 0x5
	v_add_f64_e32 v[171:172], v[28:29], v[80:81]
	v_add_f64_e64 v[173:174], v[30:31], -v[82:83]
	v_add_f64_e32 v[175:176], v[30:31], v[82:83]
	v_add_f64_e64 v[177:178], v[28:29], -v[80:81]
	ds_load_b128 v[20:23], v136 offset:50000
	s_wait_alu 0xfffe
	s_mov_b32 s4, s0
	v_add_f64_e32 v[187:188], v[64:65], v[40:41]
	v_add_f64_e32 v[189:190], v[66:67], v[42:43]
	v_mad_u32_u24 v123, v120, 48, 0
	s_mov_b32 s11, 0x3fee6f0e
	s_mov_b32 s12, 0x4755a5e
	v_add_f64_e32 v[28:29], v[104:105], v[36:37]
	v_add_f64_e32 v[30:31], v[106:107], v[38:39]
	;; [unrolled: 1-line block ×6, first 2 shown]
	ds_load_b128 v[48:51], v136 offset:52000
	s_wait_dscnt 0x6
	v_add_f64_e32 v[108:109], v[56:57], v[84:85]
	v_add_f64_e64 v[110:111], v[58:59], -v[86:87]
	v_add_f64_e32 v[112:113], v[58:59], v[86:87]
	v_add_f64_e64 v[114:115], v[56:57], -v[84:85]
	ds_load_b128 v[56:59], v136 offset:54000
	v_fma_f64 v[104:105], v[118:119], -0.5, v[12:13]
	v_fma_f64 v[106:107], v[137:138], -0.5, v[14:15]
	v_add_f64_e32 v[4:5], v[116:117], v[80:81]
	v_add_f64_e32 v[6:7], v[134:135], v[82:83]
	ds_load_b128 v[80:83], v136 offset:56000
	v_add_f64_e32 v[12:13], v[139:140], v[84:85]
	s_wait_dscnt 0x5
	v_add_f64_e32 v[84:85], v[88:89], v[96:97]
	v_add_f64_e32 v[116:117], v[90:91], v[98:99]
	;; [unrolled: 1-line block ×3, first 2 shown]
	s_wait_dscnt 0x4
	v_add_f64_e32 v[86:87], v[92:93], v[100:101]
	s_wait_dscnt 0x3
	v_add_f64_e32 v[16:17], v[143:144], v[20:21]
	v_add_f64_e32 v[118:119], v[94:95], v[102:103]
	;; [unrolled: 1-line block ×4, first 2 shown]
	v_add_f64_e64 v[141:142], v[60:61], -v[20:21]
	s_wait_dscnt 0x2
	v_add_f64_e32 v[20:21], v[163:164], v[48:49]
	v_add_f64_e32 v[163:164], v[76:77], v[48:49]
	v_add_f64_e64 v[179:180], v[76:77], -v[48:49]
	v_add_f64_e32 v[18:19], v[147:148], v[22:23]
	s_wait_dscnt 0x1
	v_add_f64_e32 v[76:77], v[96:97], v[56:57]
	v_add_f64_e32 v[181:182], v[98:99], v[58:59]
	v_add_f64_e64 v[137:138], v[62:63], -v[22:23]
	v_add_f64_e32 v[22:23], v[167:168], v[50:51]
	v_add_f64_e64 v[167:168], v[78:79], -v[50:51]
	v_add_f64_e32 v[78:79], v[78:79], v[50:51]
	s_wait_dscnt 0x0
	v_add_f64_e32 v[183:184], v[100:101], v[80:81]
	v_add_f64_e32 v[185:186], v[102:103], v[82:83]
	;; [unrolled: 1-line block ×4, first 2 shown]
	v_fma_f64 v[151:152], v[151:152], -0.5, v[8:9]
	v_fma_f64 v[155:156], v[155:156], -0.5, v[10:11]
	v_add_f64_e64 v[98:99], v[98:99], -v[58:59]
	v_add_f64_e64 v[96:97], v[96:97], -v[56:57]
	v_add_f64_e64 v[102:103], v[102:103], -v[82:83]
	v_add_f64_e64 v[100:101], v[100:101], -v[80:81]
	global_wb scope:SCOPE_SE
	s_barrier_signal -1
	s_barrier_wait -1
	v_fma_f64 v[48:49], v[145:146], s[0:1], v[104:105]
	s_wait_alu 0xfffe
	v_fma_f64 v[60:61], v[145:146], s[4:5], v[104:105]
	v_fma_f64 v[50:51], v[149:150], s[4:5], v[106:107]
	;; [unrolled: 1-line block ×3, first 2 shown]
	v_fma_f64 v[104:105], v[159:160], -0.5, v[0:1]
	v_fma_f64 v[106:107], v[165:166], -0.5, v[2:3]
	v_add_f64_e32 v[8:9], v[84:85], v[56:57]
	v_add_f64_e32 v[10:11], v[116:117], v[58:59]
	v_fma_f64 v[56:57], v[171:172], -0.5, v[32:33]
	v_add_f64_e32 v[0:1], v[86:87], v[80:81]
	v_fma_f64 v[58:59], v[175:176], -0.5, v[34:35]
	;; [unrolled: 2-line block ×3, first 2 shown]
	v_fma_f64 v[82:83], v[112:113], -0.5, v[54:55]
	v_fma_f64 v[84:85], v[134:135], -0.5, v[68:69]
	;; [unrolled: 1-line block ×4, first 2 shown]
	v_add_f64_e64 v[108:109], v[66:67], -v[42:43]
	v_add_f64_e64 v[112:113], v[64:65], -v[40:41]
	v_fma_f64 v[88:89], v[76:77], -0.5, v[88:89]
	v_fma_f64 v[90:91], v[181:182], -0.5, v[90:91]
	;; [unrolled: 1-line block ×3, first 2 shown]
	global_inv scope:SCOPE_SE
	s_mov_b32 s13, 0xbfe2cf23
	v_fma_f64 v[118:119], v[78:79], -0.5, v[74:75]
	v_fma_f64 v[134:135], v[183:184], -0.5, v[92:93]
	;; [unrolled: 1-line block ×3, first 2 shown]
	v_add_f64_e32 v[32:33], v[143:144], v[40:41]
	v_fma_f64 v[143:144], v[187:188], -0.5, v[24:25]
	v_add_f64_e32 v[34:35], v[147:148], v[42:43]
	v_fma_f64 v[40:41], v[153:154], s[0:1], v[151:152]
	v_fma_f64 v[42:43], v[157:158], s[4:5], v[155:156]
	v_fma_f64 v[52:53], v[153:154], s[4:5], v[151:152]
	v_fma_f64 v[54:55], v[157:158], s[0:1], v[155:156]
	ds_store_b128 v123, v[28:31]
	ds_store_b128 v123, v[48:51] offset:16
	ds_store_b128 v123, v[60:63] offset:32
	v_mad_i32_i24 v147, v122, 48, 0
	v_mad_i32_i24 v148, v133, 48, 0
	v_fma_f64 v[24:25], v[161:162], s[0:1], v[104:105]
	v_fma_f64 v[26:27], v[169:170], s[4:5], v[106:107]
	;; [unrolled: 1-line block ×31, first 2 shown]
	ds_store_b128 v147, v[36:39]
	ds_store_b128 v147, v[40:43] offset:16
	ds_store_b128 v147, v[52:55] offset:32
	v_mad_i32_i24 v36, v132, 48, 0
	ds_store_b128 v148, v[44:47]
	ds_store_b128 v148, v[24:27] offset:16
	v_and_b32_e32 v108, 0xff, v120
	v_mad_i32_i24 v24, v131, 48, 0
	v_mad_i32_i24 v138, v130, 48, 0
	v_and_b32_e32 v117, 0xff, v122
	v_fma_f64 v[106:107], v[112:113], s[0:1], v[145:146]
	v_mad_i32_i24 v137, v129, 48, 0
	ds_store_b128 v148, v[28:31] offset:32
	ds_store_b128 v36, v[4:7]
	ds_store_b128 v36, v[48:51] offset:16
	v_mul_lo_u16 v4, 0xab, v108
	ds_store_b128 v36, v[56:59] offset:32
	ds_store_b128 v24, v[12:15]
	ds_store_b128 v24, v[60:63] offset:16
	ds_store_b128 v24, v[64:67] offset:32
	ds_store_b128 v138, v[16:19]
	ds_store_b128 v138, v[68:71] offset:16
	;; [unrolled: 3-line block ×3, first 2 shown]
	ds_store_b128 v137, v[80:83] offset:32
	ds_store_b128 v123, v[8:11] offset:42000
	;; [unrolled: 1-line block ×5, first 2 shown]
	v_mul_lo_u16 v1, 0xab, v117
	v_lshrrev_b16 v135, 9, v4
	v_mad_i32_i24 v5, v128, 48, 0
	ds_store_b128 v123, v[92:95] offset:48016
	ds_store_b128 v123, v[96:99] offset:48032
	ds_store_b128 v5, v[32:35]
	ds_store_b128 v5, v[100:103] offset:16
	ds_store_b128 v5, v[104:107] offset:32
	v_lshrrev_b16 v148, 9, v1
	v_mul_lo_u16 v4, v135, 3
	global_wb scope:SCOPE_SE
	s_wait_dscnt 0x0
	s_barrier_signal -1
	s_barrier_wait -1
	v_mul_lo_u16 v1, v148, 3
	v_sub_nc_u16 v4, v120, v4
	global_inv scope:SCOPE_SE
	v_and_b32_e32 v116, 0xffff, v133
	v_and_b32_e32 v109, 0xffff, v132
	v_sub_nc_u16 v16, v122, v1
	v_and_b32_e32 v146, 0xff, v4
	v_and_b32_e32 v110, 0xffff, v131
	;; [unrolled: 1-line block ×3, first 2 shown]
	v_mul_u32_u24_e32 v37, 0xaaab, v109
	v_and_b32_e32 v149, 0xff, v16
	v_lshlrev_b32_e32 v0, 6, v146
	v_mul_u32_u24_e32 v16, 0xaaab, v116
	v_mul_u32_u24_e32 v65, 0xaaab, v111
	v_lshrrev_b32_e32 v134, 17, v37
	v_lshlrev_b32_e32 v17, 6, v149
	s_clause 0x2
	global_load_b128 v[12:15], v0, s[8:9]
	global_load_b128 v[8:11], v0, s[8:9] offset:16
	global_load_b128 v[4:7], v0, s[8:9] offset:32
	v_lshrrev_b32_e32 v118, 17, v16
	s_clause 0x2
	global_load_b128 v[28:31], v17, s[8:9]
	global_load_b128 v[0:3], v0, s[8:9] offset:48
	global_load_b128 v[24:27], v17, s[8:9] offset:16
	v_mul_lo_u16 v37, v134, 3
	v_mul_lo_u16 v16, v118, 3
	v_lshrrev_b32_e32 v114, 17, v65
	v_lshlrev_b32_e32 v123, 5, v129
	v_lshlrev_b32_e32 v143, 5, v130
	v_sub_nc_u16 v48, v132, v37
	v_sub_nc_u16 v16, v133, v16
	v_mul_lo_u16 v65, v114, 3
	v_sub_nc_u32_e32 v145, v137, v123
	v_sub_nc_u32_e32 v144, v138, v143
	v_and_b32_e32 v147, 0xffff, v48
	v_and_b32_e32 v119, 0xffff, v16
	s_clause 0x1
	global_load_b128 v[20:23], v17, s[8:9] offset:32
	global_load_b128 v[16:19], v17, s[8:9] offset:48
	v_mul_u32_u24_e32 v48, 0xaaab, v110
	v_sub_nc_u16 v72, v130, v65
	v_lshlrev_b32_e32 v49, 6, v147
	v_lshlrev_b32_e32 v36, 6, v119
	s_mov_b32 s4, 0x134454ff
	v_lshrrev_b32_e32 v112, 17, v48
	v_and_b32_e32 v115, 0xffff, v72
	s_clause 0x5
	global_load_b128 v[60:63], v49, s[8:9]
	global_load_b128 v[32:35], v36, s[8:9]
	global_load_b128 v[44:47], v36, s[8:9] offset:16
	global_load_b128 v[40:43], v36, s[8:9] offset:32
	;; [unrolled: 1-line block ×4, first 2 shown]
	v_mul_lo_u16 v48, v112, 3
	global_load_b128 v[52:55], v49, s[8:9] offset:32
	v_lshlrev_b32_e32 v76, 6, v115
	s_mov_b32 s5, 0xbfee6f0e
	s_wait_alu 0xfffe
	s_mov_b32 s10, s4
	v_sub_nc_u16 v48, v131, v48
	s_mov_b32 s17, 0x3fe2cf23
	s_mov_b32 s16, s12
	;; [unrolled: 1-line block ×4, first 2 shown]
	v_and_b32_e32 v113, 0xffff, v48
	v_and_b32_e32 v135, 0xffff, v135
	v_lshlrev_b32_e32 v146, 4, v146
	v_cmp_gt_u32_e64 s0, 0x4b, v120
	s_mov_b32 s21, 0xbfd3c6ef
	v_lshlrev_b32_e32 v64, 6, v113
	v_mul_u32_u24_e32 v135, 0xf0, v135
	s_mov_b32 s20, s14
	s_mov_b32 s22, 0x9b97f4a8
	;; [unrolled: 1-line block ×3, first 2 shown]
	s_clause 0x8
	global_load_b128 v[84:87], v64, s[8:9]
	global_load_b128 v[48:51], v49, s[8:9] offset:48
	global_load_b128 v[80:83], v64, s[8:9] offset:16
	;; [unrolled: 1-line block ×4, first 2 shown]
	global_load_b128 v[72:75], v76, s[8:9]
	global_load_b128 v[92:95], v76, s[8:9] offset:16
	global_load_b128 v[88:91], v76, s[8:9] offset:32
	;; [unrolled: 1-line block ×3, first 2 shown]
	ds_load_b128 v[100:103], v145
	ds_load_b128 v[96:99], v136 offset:24000
	ds_load_b128 v[139:142], v136 offset:36000
	ds_load_b128 v[104:107], v144
	ds_load_b128 v[150:153], v136 offset:48000
	ds_load_b128 v[154:157], v136 offset:22000
	;; [unrolled: 1-line block ×9, first 2 shown]
	v_add3_u32 v135, 0, v135, v146
	v_and_b32_e32 v146, 0xffff, v148
	v_lshlrev_b32_e32 v148, 4, v149
	s_mov_b32 s19, 0xbfe9e377
	s_mov_b32 s18, s22
	s_mov_b32 s1, exec_lo
	v_mul_u32_u24_e32 v146, 0xf0, v146
	s_delay_alu instid0(VALU_DEP_1)
	v_add3_u32 v146, 0, v146, v148
	s_wait_loadcnt_dscnt 0x170c
	v_mul_f64_e32 v[186:187], v[102:103], v[14:15]
	v_mul_f64_e32 v[14:15], v[100:101], v[14:15]
	s_wait_loadcnt_dscnt 0x160b
	v_mul_f64_e32 v[188:189], v[98:99], v[10:11]
	v_mul_f64_e32 v[190:191], v[96:97], v[10:11]
	;; [unrolled: 3-line block ×4, first 2 shown]
	s_wait_dscnt 0x5
	v_mul_f64_e32 v[200:201], v[164:165], v[30:31]
	v_mul_f64_e32 v[30:31], v[162:163], v[30:31]
	v_fma_f64 v[186:187], v[100:101], v[12:13], v[186:187]
	v_fma_f64 v[202:203], v[102:103], v[12:13], -v[14:15]
	ds_load_b128 v[10:13], v136 offset:28000
	s_wait_loadcnt_dscnt 0x1205
	v_mul_f64_e32 v[14:15], v[168:169], v[26:27]
	v_mul_f64_e32 v[100:101], v[166:167], v[26:27]
	v_fma_f64 v[188:189], v[96:97], v[8:9], v[188:189]
	v_fma_f64 v[190:191], v[98:99], v[8:9], -v[190:191]
	ds_load_b128 v[6:9], v136 offset:40000
	s_wait_loadcnt_dscnt 0x1104
	v_mul_f64_e32 v[96:97], v[176:177], v[22:23]
	v_mul_f64_e32 v[98:99], v[174:175], v[22:23]
	v_fma_f64 v[192:193], v[139:140], v[4:5], v[192:193]
	v_fma_f64 v[194:195], v[141:142], v[4:5], -v[194:195]
	ds_load_b128 v[2:5], v136 offset:52000
	s_wait_loadcnt_dscnt 0xe03
	v_mul_f64_e32 v[141:142], v[184:185], v[34:35]
	v_fma_f64 v[196:197], v[150:151], v[0:1], v[196:197]
	v_fma_f64 v[198:199], v[152:153], v[0:1], -v[198:199]
	v_mul_f64_e32 v[0:1], v[182:183], v[34:35]
	v_mul_f64_e32 v[139:140], v[180:181], v[18:19]
	;; [unrolled: 1-line block ×3, first 2 shown]
	v_fma_f64 v[200:201], v[162:163], v[28:29], v[200:201]
	v_fma_f64 v[206:207], v[164:165], v[28:29], -v[30:31]
	ds_load_b128 v[26:29], v136 offset:18000
	s_wait_loadcnt_dscnt 0xd03
	v_mul_f64_e32 v[34:35], v[12:13], v[46:47]
	v_mul_f64_e32 v[46:47], v[10:11], v[46:47]
	s_wait_loadcnt_dscnt 0xc02
	v_mul_f64_e32 v[204:205], v[8:9], v[42:43]
	v_mul_f64_e32 v[42:43], v[6:7], v[42:43]
	;; [unrolled: 3-line block ×3, first 2 shown]
	v_fma_f64 v[208:209], v[166:167], v[24:25], v[14:15]
	v_fma_f64 v[210:211], v[168:169], v[24:25], -v[100:101]
	ds_load_b128 v[22:25], v136 offset:30000
	ds_load_b128 v[100:103], v136 offset:42000
	;; [unrolled: 1-line block ×4, first 2 shown]
	v_fma_f64 v[214:215], v[174:175], v[20:21], v[96:97]
	v_fma_f64 v[216:217], v[176:177], v[20:21], -v[98:99]
	s_wait_dscnt 0x4
	v_mul_f64_e32 v[20:21], v[26:27], v[62:63]
	ds_load_b128 v[166:169], v136 offset:56000
	ds_load_b128 v[174:177], v136
	v_fma_f64 v[98:99], v[182:183], v[32:33], v[141:142]
	v_fma_f64 v[96:97], v[184:185], v[32:33], -v[0:1]
	ds_load_b128 v[30:33], v136 offset:32000
	v_fma_f64 v[178:179], v[178:179], v[16:17], v[139:140]
	v_fma_f64 v[180:181], v[180:181], v[16:17], -v[18:19]
	v_mul_f64_e32 v[16:17], v[28:29], v[62:63]
	v_fma_f64 v[62:63], v[10:11], v[44:45], v[34:35]
	s_wait_loadcnt_dscnt 0xa06
	v_mul_f64_e32 v[139:140], v[24:25], v[58:59]
	v_mul_f64_e32 v[141:142], v[22:23], v[58:59]
	v_fma_f64 v[58:59], v[12:13], v[44:45], -v[46:47]
	s_wait_loadcnt_dscnt 0x905
	v_mul_f64_e32 v[34:35], v[102:103], v[54:55]
	v_mul_f64_e32 v[44:45], v[100:101], v[54:55]
	v_fma_f64 v[18:19], v[6:7], v[40:41], v[204:205]
	v_fma_f64 v[14:15], v[8:9], v[40:41], -v[42:43]
	s_wait_loadcnt_dscnt 0x704
	v_mul_f64_e32 v[6:7], v[152:153], v[50:51]
	v_mul_f64_e32 v[8:9], v[150:151], v[50:51]
	s_wait_dscnt 0x3
	v_mul_f64_e32 v[40:41], v[164:165], v[86:87]
	v_fma_f64 v[0:1], v[2:3], v[36:37], v[212:213]
	v_fma_f64 v[2:3], v[4:5], v[36:37], -v[38:39]
	v_mul_f64_e32 v[36:37], v[162:163], v[86:87]
	s_wait_loadcnt_dscnt 0x600
	v_mul_f64_e32 v[86:87], v[32:33], v[82:83]
	v_mul_f64_e32 v[182:183], v[30:31], v[82:83]
	ds_load_b128 v[10:13], v136 offset:44000
	s_wait_loadcnt 0x3
	v_mul_f64_e32 v[204:205], v[156:157], v[74:75]
	v_mul_f64_e32 v[74:75], v[154:155], v[74:75]
	v_fma_f64 v[54:55], v[28:29], v[60:61], -v[20:21]
	v_mul_f64_e32 v[28:29], v[168:169], v[66:67]
	v_fma_f64 v[42:43], v[26:27], v[60:61], v[16:17]
	v_mul_f64_e32 v[60:61], v[166:167], v[66:67]
	s_wait_dscnt 0x0
	v_mul_f64_e32 v[184:185], v[12:13], v[70:71]
	v_mul_f64_e32 v[16:17], v[10:11], v[70:71]
	v_add_f64_e32 v[70:71], v[202:203], v[198:199]
	v_fma_f64 v[46:47], v[22:23], v[56:57], v[139:140]
	v_fma_f64 v[50:51], v[24:25], v[56:57], -v[141:142]
	v_add_f64_e32 v[56:57], v[186:187], v[196:197]
	v_fma_f64 v[26:27], v[100:101], v[52:53], v[34:35]
	v_fma_f64 v[24:25], v[102:103], v[52:53], -v[44:45]
	v_add_f64_e32 v[34:35], v[188:189], v[192:193]
	v_add_f64_e32 v[44:45], v[190:191], v[194:195]
	v_fma_f64 v[4:5], v[150:151], v[48:49], v[6:7]
	v_fma_f64 v[6:7], v[152:153], v[48:49], -v[8:9]
	s_wait_loadcnt 0x2
	v_mul_f64_e32 v[48:49], v[160:161], v[94:95]
	v_mul_f64_e32 v[94:95], v[158:159], v[94:95]
	v_fma_f64 v[38:39], v[162:163], v[84:85], v[40:41]
	v_fma_f64 v[52:53], v[164:165], v[84:85], -v[36:37]
	ds_load_b128 v[82:85], v136 offset:58000
	v_fma_f64 v[40:41], v[30:31], v[80:81], v[86:87]
	v_fma_f64 v[36:37], v[32:33], v[80:81], -v[182:183]
	v_add_f64_e32 v[30:31], v[174:175], v[186:187]
	v_add_f64_e32 v[80:81], v[200:201], v[178:179]
	v_lshl_add_u32 v142, v122, 4, 0
	v_lshl_add_u32 v140, v133, 4, 0
	v_add_f64_e32 v[86:87], v[206:207], v[180:181]
	s_wait_loadcnt 0x1
	v_mul_f64_e32 v[150:151], v[172:173], v[90:91]
	v_mul_f64_e32 v[90:91], v[170:171], v[90:91]
	ds_load_b128 v[100:103], v142
	v_add_f64_e32 v[152:153], v[176:177], v[202:203]
	v_fma_f64 v[8:9], v[166:167], v[64:65], v[28:29]
	v_add_f64_e64 v[162:163], v[202:203], -v[198:199]
	v_add_f64_e64 v[164:165], v[186:187], -v[196:197]
	v_add_f64_e32 v[212:213], v[96:97], v[2:3]
	v_lshl_add_u32 v141, v132, 4, 0
	v_lshl_add_u32 v139, v131, 4, 0
	v_fma_f64 v[20:21], v[10:11], v[68:69], v[184:185]
	v_fma_f64 v[22:23], v[12:13], v[68:69], -v[16:17]
	ds_load_b128 v[66:69], v140
	v_fma_f64 v[10:11], v[168:169], v[64:65], -v[60:61]
	v_add_f64_e64 v[60:61], v[190:191], -v[194:195]
	v_fma_f64 v[56:57], v[56:57], -0.5, v[174:175]
	v_add_f64_e64 v[64:65], v[188:189], -v[192:193]
	v_fma_f64 v[70:71], v[70:71], -0.5, v[176:177]
	s_wait_dscnt 0x1
	v_add_f64_e32 v[12:13], v[100:101], v[200:201]
	v_add_f64_e32 v[16:17], v[102:103], v[206:207]
	v_fma_f64 v[166:167], v[34:35], -0.5, v[174:175]
	v_fma_f64 v[168:169], v[44:45], -0.5, v[176:177]
	s_wait_loadcnt 0x0
	v_mul_f64_e32 v[174:175], v[84:85], v[78:79]
	v_mul_f64_e32 v[78:79], v[82:83], v[78:79]
	v_fma_f64 v[34:35], v[154:155], v[72:73], v[204:205]
	v_fma_f64 v[32:33], v[158:159], v[92:93], v[48:49]
	v_fma_f64 v[48:49], v[160:161], v[92:93], -v[94:95]
	v_add_f64_e32 v[92:93], v[208:209], v[214:215]
	v_add_f64_e32 v[94:95], v[210:211], v[216:217]
	v_add_f64_e64 v[154:155], v[210:211], -v[216:217]
	v_add_f64_e32 v[158:159], v[30:31], v[188:189]
	v_fma_f64 v[80:81], v[80:81], -0.5, v[100:101]
	v_fma_f64 v[44:45], v[156:157], v[72:73], -v[74:75]
	v_add_f64_e64 v[72:73], v[186:187], -v[188:189]
	v_add_f64_e64 v[74:75], v[196:197], -v[192:193]
	;; [unrolled: 1-line block ×3, first 2 shown]
	v_fma_f64 v[86:87], v[86:87], -0.5, v[102:103]
	v_fma_f64 v[30:31], v[170:171], v[88:89], v[150:151]
	v_add_f64_e32 v[150:151], v[152:153], v[190:191]
	v_fma_f64 v[28:29], v[172:173], v[88:89], -v[90:91]
	v_add_f64_e64 v[88:89], v[188:189], -v[186:187]
	v_add_f64_e64 v[90:91], v[192:193], -v[196:197]
	;; [unrolled: 1-line block ×6, first 2 shown]
	v_add_f64_e32 v[218:219], v[46:47], v[26:27]
	v_add_f64_e32 v[222:223], v[50:51], v[24:25]
	s_wait_alu 0xfffe
	v_fma_f64 v[176:177], v[60:61], s[10:11], v[56:57]
	v_fma_f64 v[56:57], v[60:61], s[4:5], v[56:57]
	;; [unrolled: 1-line block ×3, first 2 shown]
	v_add_f64_e32 v[170:171], v[12:13], v[208:209]
	v_add_f64_e32 v[172:173], v[16:17], v[210:211]
	v_fma_f64 v[70:71], v[64:65], s[10:11], v[70:71]
	v_fma_f64 v[188:189], v[162:163], s[4:5], v[166:167]
	;; [unrolled: 1-line block ×6, first 2 shown]
	v_fma_f64 v[16:17], v[84:85], v[76:77], -v[78:79]
	v_add_f64_e64 v[78:79], v[208:209], -v[200:201]
	v_add_f64_e64 v[84:85], v[214:215], -v[178:179]
	;; [unrolled: 1-line block ×3, first 2 shown]
	v_fma_f64 v[92:93], v[92:93], -0.5, v[100:101]
	v_fma_f64 v[94:95], v[94:95], -0.5, v[102:103]
	v_add_f64_e64 v[102:103], v[200:201], -v[178:179]
	v_add_f64_e32 v[158:159], v[158:159], v[192:193]
	v_fma_f64 v[192:193], v[154:155], s[10:11], v[80:81]
	v_add_f64_e64 v[168:169], v[210:211], -v[206:207]
	v_add_f64_e64 v[100:101], v[216:217], -v[180:181]
	v_fma_f64 v[204:205], v[156:157], s[4:5], v[86:87]
	v_fma_f64 v[80:81], v[154:155], s[4:5], v[80:81]
	v_add_f64_e32 v[150:151], v[150:151], v[194:195]
	v_fma_f64 v[86:87], v[156:157], s[10:11], v[86:87]
	v_add_f64_e32 v[90:91], v[88:89], v[90:91]
	v_add_f64_e32 v[194:195], v[98:99], v[0:1]
	;; [unrolled: 1-line block ×4, first 2 shown]
	v_fma_f64 v[56:57], v[162:163], s[16:17], v[56:57]
	v_add_f64_e32 v[88:89], v[170:171], v[214:215]
	v_add_f64_e32 v[160:161], v[172:173], v[216:217]
	v_fma_f64 v[170:171], v[162:163], s[12:13], v[176:177]
	v_fma_f64 v[162:163], v[164:165], s[16:17], v[182:183]
	;; [unrolled: 1-line block ×3, first 2 shown]
	v_add_f64_e32 v[172:173], v[184:185], v[186:187]
	v_fma_f64 v[176:177], v[60:61], s[12:13], v[188:189]
	v_fma_f64 v[182:183], v[64:65], s[16:17], v[190:191]
	v_add_f64_e64 v[184:185], v[200:201], -v[208:209]
	v_fma_f64 v[64:65], v[64:65], s[12:13], v[166:167]
	v_add_f64_e64 v[166:167], v[206:207], -v[210:211]
	v_add_f64_e64 v[186:187], v[178:179], -v[214:215]
	;; [unrolled: 1-line block ×3, first 2 shown]
	v_add_f64_e32 v[200:201], v[78:79], v[84:85]
	v_fma_f64 v[206:207], v[174:175], s[4:5], v[92:93]
	v_fma_f64 v[208:209], v[174:175], s[10:11], v[92:93]
	;; [unrolled: 1-line block ×6, first 2 shown]
	v_add_f64_e32 v[168:169], v[168:169], v[100:101]
	v_fma_f64 v[204:205], v[102:103], s[16:17], v[204:205]
	v_add_f64_e32 v[214:215], v[62:63], v[18:19]
	v_fma_f64 v[174:175], v[174:175], s[16:17], v[80:81]
	v_fma_f64 v[220:221], v[102:103], s[12:13], v[86:87]
	v_add_f64_e32 v[78:79], v[158:159], v[196:197]
	v_add_f64_e32 v[80:81], v[150:151], v[198:199]
	;; [unrolled: 1-line block ×4, first 2 shown]
	ds_load_b128 v[70:73], v141
	ds_load_b128 v[74:77], v139
	v_add_f64_e64 v[190:191], v[62:63], -v[98:99]
	v_add_f64_e32 v[216:217], v[58:59], v[14:15]
	global_wb scope:SCOPE_SE
	s_wait_dscnt 0x0
	s_barrier_signal -1
	s_barrier_wait -1
	global_inv scope:SCOPE_SE
	v_add_f64_e32 v[82:83], v[88:89], v[178:179]
	v_add_f64_e32 v[84:85], v[160:161], v[180:181]
	;; [unrolled: 1-line block ×3, first 2 shown]
	v_fma_f64 v[86:87], v[90:91], s[14:15], v[170:171]
	v_fma_f64 v[88:89], v[152:153], s[14:15], v[162:163]
	;; [unrolled: 1-line block ×4, first 2 shown]
	v_add_f64_e32 v[56:57], v[38:39], v[8:9]
	v_fma_f64 v[102:103], v[172:173], s[14:15], v[182:183]
	v_fma_f64 v[152:153], v[172:173], s[14:15], v[64:65]
	v_add_f64_e32 v[64:65], v[48:49], v[28:29]
	v_add_f64_e32 v[170:171], v[184:185], v[186:187]
	;; [unrolled: 1-line block ×3, first 2 shown]
	v_add_f64_e64 v[188:189], v[58:59], -v[14:15]
	v_fma_f64 v[180:181], v[154:155], s[12:13], v[206:207]
	v_fma_f64 v[182:183], v[154:155], s[16:17], v[208:209]
	;; [unrolled: 1-line block ×5, first 2 shown]
	v_fma_f64 v[192:193], v[194:195], -0.5, v[66:67]
	v_add_f64_e32 v[176:177], v[44:45], v[16:17]
	v_fma_f64 v[186:187], v[156:157], s[16:17], v[210:211]
	v_fma_f64 v[156:157], v[168:169], s[14:15], v[204:205]
	;; [unrolled: 1-line block ×4, first 2 shown]
	v_add_f64_e64 v[168:169], v[58:59], -v[96:97]
	v_fma_f64 v[194:195], v[212:213], -0.5, v[68:69]
	v_fma_f64 v[200:201], v[214:215], -0.5, v[66:67]
	v_add_f64_e32 v[206:207], v[70:71], v[42:43]
	v_fma_f64 v[208:209], v[218:219], -0.5, v[70:71]
	v_fma_f64 v[210:211], v[222:223], -0.5, v[72:73]
	;; [unrolled: 1-line block ×4, first 2 shown]
	v_add_f64_e32 v[212:213], v[72:73], v[54:55]
	v_add_f64_e32 v[214:215], v[74:75], v[38:39]
	v_add_f64_e64 v[72:73], v[14:15], -v[2:3]
	v_fma_f64 v[150:151], v[202:203], s[14:15], v[60:61]
	v_add_f64_e32 v[60:61], v[32:33], v[30:31]
	v_add_f64_e32 v[172:173], v[34:35], v[12:13]
	v_add_f64_e64 v[184:185], v[18:19], -v[0:1]
	v_fma_f64 v[178:179], v[178:179], -0.5, v[74:75]
	v_add_f64_e32 v[174:175], v[66:67], v[98:99]
	v_add_f64_e32 v[220:221], v[106:107], v[44:45]
	v_fma_f64 v[202:203], v[216:217], -0.5, v[68:69]
	v_add_f64_e32 v[216:217], v[104:105], v[34:35]
	v_fma_f64 v[56:57], v[56:57], -0.5, v[74:75]
	v_add_f64_e32 v[204:205], v[68:69], v[96:97]
	ds_store_b128 v135, v[78:81]
	v_fma_f64 v[218:219], v[64:65], -0.5, v[106:107]
	v_add_f64_e64 v[78:79], v[42:43], -v[46:47]
	v_add_f64_e64 v[80:81], v[4:5], -v[26:27]
	ds_store_b128 v135, v[86:89] offset:96
	ds_store_b128 v135, v[90:93] offset:144
	v_fma_f64 v[64:65], v[170:171], s[14:15], v[180:181]
	v_add_f64_e64 v[180:181], v[96:97], -v[2:3]
	v_fma_f64 v[70:71], v[166:167], s[14:15], v[94:95]
	v_add_f64_e64 v[94:95], v[62:63], -v[18:19]
	v_fma_f64 v[74:75], v[188:189], s[10:11], v[192:193]
	v_fma_f64 v[176:177], v[176:177], -0.5, v[106:107]
	v_fma_f64 v[66:67], v[166:167], s[14:15], v[186:187]
	v_add_f64_e64 v[166:167], v[98:99], -v[0:1]
	v_fma_f64 v[148:149], v[188:189], s[4:5], v[192:193]
	v_add_f64_e64 v[98:99], v[98:99], -v[62:63]
	v_add_f64_e64 v[96:97], v[96:97], -v[58:59]
	ds_store_b128 v135, v[100:103] offset:48
	v_add_f64_e64 v[100:101], v[54:55], -v[50:51]
	v_add_f64_e64 v[102:103], v[6:7], -v[24:25]
	;; [unrolled: 1-line block ×6, first 2 shown]
	v_fma_f64 v[68:69], v[170:171], s[14:15], v[182:183]
	v_add_f64_e64 v[170:171], v[38:39], -v[40:41]
	v_add_f64_e32 v[106:107], v[168:169], v[72:73]
	v_add_f64_e32 v[162:163], v[36:37], v[22:23]
	v_fma_f64 v[60:61], v[60:61], -0.5, v[104:105]
	v_fma_f64 v[172:173], v[172:173], -0.5, v[104:105]
	v_add_f64_e32 v[104:105], v[190:191], v[184:185]
	v_add_f64_e32 v[164:165], v[52:53], v[10:11]
	;; [unrolled: 1-line block ×3, first 2 shown]
	v_add_f64_e64 v[174:175], v[8:9], -v[20:21]
	v_add_f64_e64 v[54:55], v[54:55], -v[6:7]
	;; [unrolled: 1-line block ×3, first 2 shown]
	v_add_f64_e32 v[182:183], v[206:207], v[46:47]
	v_add_f64_e32 v[58:59], v[204:205], v[58:59]
	v_add_f64_e32 v[184:185], v[212:213], v[50:51]
	v_add_f64_e64 v[46:47], v[46:47], -v[26:27]
	v_add_f64_e64 v[50:51], v[50:51], -v[24:25]
	v_add_f64_e32 v[78:79], v[78:79], v[80:81]
	v_add_f64_e64 v[80:81], v[40:41], -v[38:39]
	v_add_f64_e64 v[38:39], v[38:39], -v[8:9]
	v_add_f64_e64 v[186:187], v[44:45], -v[16:17]
	v_fma_f64 v[190:191], v[180:181], s[4:5], v[200:201]
	ds_store_b128 v135, v[150:153] offset:192
	v_fma_f64 v[168:169], v[94:95], s[10:11], v[194:195]
	v_fma_f64 v[72:73], v[180:181], s[12:13], v[74:75]
	;; [unrolled: 1-line block ×3, first 2 shown]
	v_add_f64_e64 v[194:195], v[32:33], -v[34:35]
	v_fma_f64 v[192:193], v[166:167], s[10:11], v[202:203]
	v_fma_f64 v[148:149], v[180:181], s[16:17], v[148:149]
	;; [unrolled: 1-line block ×3, first 2 shown]
	v_add_f64_e32 v[200:201], v[216:217], v[32:33]
	ds_store_b128 v146, v[82:85]
	ds_store_b128 v146, v[64:67] offset:48
	v_add_f64_e32 v[100:101], v[100:101], v[102:103]
	v_add_f64_e64 v[102:103], v[20:21], -v[8:9]
	v_add_f64_e32 v[86:87], v[86:87], v[88:89]
	v_add_f64_e64 v[88:89], v[36:37], -v[52:53]
	;; [unrolled: 2-line block ×3, first 2 shown]
	v_fma_f64 v[162:163], v[162:163], -0.5, v[76:77]
	v_fma_f64 v[164:165], v[164:165], -0.5, v[76:77]
	v_add_f64_e32 v[76:77], v[76:77], v[52:53]
	v_add_f64_e32 v[170:171], v[170:171], v[174:175]
	v_add_f64_e64 v[174:175], v[34:35], -v[32:33]
	v_add_f64_e64 v[34:35], v[34:35], -v[12:13]
	v_fma_f64 v[204:205], v[42:43], s[4:5], v[210:211]
	v_add_f64_e64 v[32:33], v[32:33], -v[30:31]
	v_add_f64_e32 v[182:183], v[182:183], v[26:27]
	v_add_f64_e64 v[26:27], v[30:31], -v[12:13]
	v_fma_f64 v[150:151], v[50:51], s[10:11], v[196:197]
	v_fma_f64 v[152:153], v[50:51], s[4:5], v[196:197]
	;; [unrolled: 1-line block ×4, first 2 shown]
	v_add_f64_e32 v[184:185], v[184:185], v[24:25]
	v_fma_f64 v[190:191], v[188:189], s[12:13], v[190:191]
	v_add_f64_e64 v[24:25], v[28:29], -v[16:17]
	v_fma_f64 v[168:169], v[166:167], s[12:13], v[168:169]
	v_fma_f64 v[72:73], v[104:105], s[14:15], v[72:73]
	;; [unrolled: 1-line block ×6, first 2 shown]
	v_add_f64_e64 v[148:149], v[0:1], -v[18:19]
	v_add_f64_e32 v[18:19], v[62:63], v[18:19]
	v_fma_f64 v[62:63], v[54:55], s[4:5], v[208:209]
	v_fma_f64 v[180:181], v[188:189], s[16:17], v[180:181]
	;; [unrolled: 1-line block ×3, first 2 shown]
	v_add_f64_e32 v[80:81], v[80:81], v[102:103]
	v_add_f64_e64 v[102:103], v[44:45], -v[48:49]
	v_add_f64_e64 v[44:45], v[48:49], -v[44:45]
	v_fma_f64 v[60:61], v[186:187], s[10:11], v[60:61]
	v_add_f64_e32 v[88:89], v[88:89], v[92:93]
	v_add_f64_e64 v[92:93], v[16:17], -v[28:29]
	v_fma_f64 v[192:193], v[94:95], s[16:17], v[192:193]
	v_fma_f64 v[64:65], v[38:39], s[10:11], v[162:163]
	;; [unrolled: 1-line block ×4, first 2 shown]
	v_add_f64_e32 v[4:5], v[182:183], v[4:5]
	v_add_f64_e32 v[6:7], v[184:185], v[6:7]
	v_fma_f64 v[74:75], v[106:107], s[14:15], v[74:75]
	v_fma_f64 v[106:107], v[106:107], s[14:15], v[168:169]
	v_add_f64_e64 v[168:169], v[2:3], -v[14:15]
	v_add_f64_e32 v[14:15], v[58:59], v[14:15]
	v_add_f64_e32 v[98:99], v[98:99], v[148:149]
	v_add_f64_e64 v[148:149], v[52:53], -v[36:37]
	v_add_f64_e64 v[52:53], v[52:53], -v[10:11]
	v_fma_f64 v[58:59], v[42:43], s[10:11], v[210:211]
	v_fma_f64 v[94:95], v[94:95], s[12:13], v[166:167]
	;; [unrolled: 1-line block ×5, first 2 shown]
	v_add_f64_e32 v[0:1], v[18:19], v[0:1]
	v_add_f64_e32 v[92:93], v[102:103], v[92:93]
	v_add_f64_e64 v[102:103], v[36:37], -v[22:23]
	v_add_f64_e32 v[36:37], v[76:77], v[36:37]
	v_add_f64_e64 v[76:77], v[48:49], -v[28:29]
	v_add_f64_e32 v[48:49], v[220:221], v[48:49]
	v_add_f64_e32 v[96:97], v[96:97], v[168:169]
	v_add_f64_e64 v[168:169], v[10:11], -v[22:23]
	v_add_f64_e32 v[2:3], v[14:15], v[2:3]
	v_fma_f64 v[18:19], v[98:99], s[14:15], v[190:191]
	v_fma_f64 v[82:83], v[52:53], s[4:5], v[178:179]
	v_fma_f64 v[84:85], v[52:53], s[10:11], v[178:179]
	v_fma_f64 v[58:59], v[46:47], s[16:17], v[58:59]
	v_fma_f64 v[46:47], v[46:47], s[12:13], v[204:205]
	v_fma_f64 v[204:205], v[32:33], s[4:5], v[176:177]
	v_fma_f64 v[176:177], v[32:33], s[10:11], v[176:177]
	v_fma_f64 v[178:179], v[102:103], s[10:11], v[56:57]
	v_fma_f64 v[56:57], v[102:103], s[4:5], v[56:57]
	v_fma_f64 v[202:203], v[76:77], s[10:11], v[172:173]
	v_fma_f64 v[172:173], v[76:77], s[4:5], v[172:173]
	v_add_f64_e32 v[210:211], v[36:37], v[22:23]
	v_fma_f64 v[36:37], v[54:55], s[12:13], v[150:151]
	v_fma_f64 v[54:55], v[54:55], s[16:17], v[152:153]
	v_fma_f64 v[152:153], v[76:77], s[12:13], v[188:189]
	v_fma_f64 v[76:77], v[76:77], s[16:17], v[60:61]
	v_fma_f64 v[60:61], v[32:33], s[16:17], v[166:167]
	v_fma_f64 v[22:23], v[98:99], s[14:15], v[180:181]
	v_add_f64_e32 v[148:149], v[148:149], v[168:169]
	v_add_f64_e64 v[168:169], v[12:13], -v[30:31]
	v_fma_f64 v[82:83], v[102:103], s[12:13], v[82:83]
	v_fma_f64 v[84:85], v[102:103], s[16:17], v[84:85]
	;; [unrolled: 1-line block ×7, first 2 shown]
	v_add_f64_e32 v[178:179], v[44:45], v[24:25]
	v_fma_f64 v[172:173], v[186:187], s[16:17], v[172:173]
	v_fma_f64 v[186:187], v[32:33], s[12:13], v[206:207]
	;; [unrolled: 1-line block ×4, first 2 shown]
	v_add_f64_e32 v[10:11], v[210:211], v[10:11]
	v_fma_f64 v[24:25], v[96:97], s[14:15], v[94:95]
	v_mul_u32_u24_e32 v94, 0xf0, v118
	v_lshlrev_b32_e32 v95, 4, v119
	v_fma_f64 v[60:61], v[92:93], s[14:15], v[60:61]
	v_add_f64_e32 v[168:169], v[174:175], v[168:169]
	v_add_f64_e64 v[174:175], v[40:41], -v[20:21]
	v_add_f64_e32 v[40:41], v[214:215], v[40:41]
	v_fma_f64 v[46:47], v[170:171], s[14:15], v[84:85]
	s_delay_alu instid0(VALU_DEP_4) | instskip(NEXT) | instid1(VALU_DEP_4)
	v_fma_f64 v[14:15], v[168:169], s[14:15], v[76:77]
	v_fma_f64 v[162:163], v[174:175], s[4:5], v[164:165]
	v_fma_f64 v[164:165], v[174:175], s[10:11], v[164:165]
	v_add_f64_e32 v[208:209], v[40:41], v[20:21]
	v_fma_f64 v[40:41], v[42:43], s[16:17], v[196:197]
	v_fma_f64 v[42:43], v[42:43], s[12:13], v[198:199]
	v_fma_f64 v[64:65], v[174:175], s[16:17], v[64:65]
	v_fma_f64 v[66:67], v[174:175], s[12:13], v[66:67]
	v_add_f64_e32 v[174:175], v[48:49], v[28:29]
	v_fma_f64 v[20:21], v[96:97], s[14:15], v[192:193]
	;; [unrolled: 5-line block ×3, first 2 shown]
	v_add_f64_e32 v[164:165], v[194:195], v[26:27]
	v_fma_f64 v[30:31], v[78:79], s[14:15], v[50:51]
	v_fma_f64 v[36:37], v[90:91], s[14:15], v[40:41]
	;; [unrolled: 1-line block ×5, first 2 shown]
	v_add_f64_e32 v[8:9], v[208:209], v[8:9]
	v_fma_f64 v[42:43], v[170:171], s[14:15], v[82:83]
	v_fma_f64 v[44:45], v[148:149], s[14:15], v[64:65]
	;; [unrolled: 1-line block ×3, first 2 shown]
	v_add_f64_e32 v[64:65], v[174:175], v[16:17]
	v_fma_f64 v[54:55], v[80:81], s[14:15], v[56:57]
	v_fma_f64 v[48:49], v[148:149], s[14:15], v[66:67]
	;; [unrolled: 1-line block ×5, first 2 shown]
	v_lshlrev_b32_e32 v66, 4, v147
	v_fma_f64 v[52:53], v[88:89], s[14:15], v[52:53]
	v_add_f64_e32 v[62:63], v[162:163], v[12:13]
	v_fma_f64 v[56:57], v[88:89], s[14:15], v[150:151]
	v_fma_f64 v[76:77], v[164:165], s[14:15], v[166:167]
	v_fma_f64 v[80:81], v[164:165], s[14:15], v[172:173]
	v_add3_u32 v12, 0, v94, v95
	ds_store_b128 v146, v[154:157] offset:96
	ds_store_b128 v146, v[158:161] offset:144
	;; [unrolled: 1-line block ×3, first 2 shown]
	ds_store_b128 v12, v[0:3]
	ds_store_b128 v12, v[18:21] offset:48
	v_mul_lo_u16 v1, 0x89, v108
	v_mul_u32_u24_e32 v13, 0xf0, v134
	v_mul_u32_u24_e32 v2, 0xf0, v112
	v_lshlrev_b32_e32 v3, 4, v113
	ds_store_b128 v12, v[72:75] offset:96
	ds_store_b128 v12, v[104:107] offset:144
	;; [unrolled: 1-line block ×3, first 2 shown]
	v_lshrrev_b16 v153, 11, v1
	v_add3_u32 v0, 0, v13, v66
	ds_store_b128 v0, v[4:7]
	ds_store_b128 v0, v[26:29] offset:48
	v_add3_u32 v1, 0, v2, v3
	v_mul_lo_u16 v3, v153, 15
	ds_store_b128 v0, v[34:37] offset:96
	ds_store_b128 v0, v[38:41] offset:144
	;; [unrolled: 1-line block ×3, first 2 shown]
	ds_store_b128 v1, v[8:11]
	ds_store_b128 v1, v[42:45] offset:48
	v_mul_u32_u24_e32 v2, 0xf0, v114
	v_sub_nc_u16 v0, v120, v3
	v_lshlrev_b32_e32 v4, 4, v115
	v_mul_lo_u16 v5, 0x89, v117
	ds_store_b128 v1, v[50:53] offset:96
	ds_store_b128 v1, v[54:57] offset:144
	;; [unrolled: 1-line block ×3, first 2 shown]
	v_and_b32_e32 v150, 0xff, v0
	v_add3_u32 v2, 0, v2, v4
	v_lshrrev_b16 v152, 11, v5
	ds_store_b128 v2, v[62:65]
	ds_store_b128 v2, v[58:61] offset:48
	ds_store_b128 v2, v[76:79] offset:96
	;; [unrolled: 1-line block ×4, first 2 shown]
	v_lshlrev_b32_e32 v4, 6, v150
	global_wb scope:SCOPE_SE
	s_wait_dscnt 0x0
	s_barrier_signal -1
	s_barrier_wait -1
	global_inv scope:SCOPE_SE
	s_clause 0x1
	global_load_b128 v[0:3], v4, s[8:9] offset:192
	global_load_b128 v[12:15], v4, s[8:9] offset:208
	v_mul_lo_u16 v5, v152, 15
	global_load_b128 v[8:11], v4, s[8:9] offset:224
	v_mul_u32_u24_e32 v17, 0x8889, v116
	v_mul_u32_u24_e32 v21, 0x8889, v111
	v_sub_nc_u16 v16, v122, v5
	s_delay_alu instid0(VALU_DEP_3) | instskip(NEXT) | instid1(VALU_DEP_3)
	v_lshrrev_b32_e32 v134, 19, v17
	v_lshrrev_b32_e32 v118, 19, v21
	s_delay_alu instid0(VALU_DEP_3) | instskip(NEXT) | instid1(VALU_DEP_3)
	v_and_b32_e32 v151, 0xff, v16
	v_mul_lo_u16 v17, v134, 15
	s_delay_alu instid0(VALU_DEP_3) | instskip(SKIP_1) | instid1(VALU_DEP_4)
	v_mul_lo_u16 v21, v118, 15
	v_mul_u32_u24_e32 v134, 0x4b0, v134
	v_lshlrev_b32_e32 v16, 6, v151
	s_delay_alu instid0(VALU_DEP_4) | instskip(NEXT) | instid1(VALU_DEP_4)
	v_sub_nc_u16 v17, v133, v17
	v_sub_nc_u16 v28, v130, v21
	s_clause 0x2
	global_load_b128 v[40:43], v16, s[8:9] offset:192
	global_load_b128 v[4:7], v4, s[8:9] offset:240
	global_load_b128 v[36:39], v16, s[8:9] offset:208
	v_and_b32_e32 v135, 0xffff, v17
	global_load_b128 v[32:35], v16, s[8:9] offset:224
	v_and_b32_e32 v119, 0xffff, v28
	v_lshlrev_b32_e32 v17, 6, v135
	s_clause 0x1
	global_load_b128 v[24:27], v16, s[8:9] offset:240
	global_load_b128 v[60:63], v17, s[8:9] offset:192
	v_mul_u32_u24_e32 v16, 0x8889, v109
	s_clause 0x2
	global_load_b128 v[80:83], v17, s[8:9] offset:208
	global_load_b128 v[76:79], v17, s[8:9] offset:224
	;; [unrolled: 1-line block ×3, first 2 shown]
	v_lshlrev_b32_e32 v64, 6, v119
	v_lshrrev_b32_e32 v146, 19, v16
	v_lshlrev_b32_e32 v135, 4, v135
	s_delay_alu instid0(VALU_DEP_2) | instskip(NEXT) | instid1(VALU_DEP_1)
	v_mul_lo_u16 v16, v146, 15
	v_sub_nc_u16 v16, v132, v16
	s_delay_alu instid0(VALU_DEP_1) | instskip(NEXT) | instid1(VALU_DEP_1)
	v_and_b32_e32 v147, 0xffff, v16
	v_lshlrev_b32_e32 v16, 6, v147
	s_clause 0x2
	global_load_b128 v[84:87], v16, s[8:9] offset:192
	global_load_b128 v[92:95], v16, s[8:9] offset:208
	;; [unrolled: 1-line block ×3, first 2 shown]
	v_mul_u32_u24_e32 v17, 0x8889, v110
	s_delay_alu instid0(VALU_DEP_1) | instskip(NEXT) | instid1(VALU_DEP_1)
	v_lshrrev_b32_e32 v148, 19, v17
	v_mul_lo_u16 v17, v148, 15
	s_delay_alu instid0(VALU_DEP_1) | instskip(NEXT) | instid1(VALU_DEP_1)
	v_sub_nc_u16 v17, v131, v17
	v_and_b32_e32 v149, 0xffff, v17
	global_load_b128 v[16:19], v16, s[8:9] offset:240
	v_lshlrev_b32_e32 v20, 6, v149
	s_clause 0x7
	global_load_b128 v[52:55], v20, s[8:9] offset:192
	global_load_b128 v[48:51], v20, s[8:9] offset:208
	;; [unrolled: 1-line block ×8, first 2 shown]
	ds_load_b128 v[108:111], v145
	ds_load_b128 v[104:107], v136 offset:24000
	ds_load_b128 v[100:103], v136 offset:36000
	;; [unrolled: 1-line block ×3, first 2 shown]
	ds_load_b128 v[112:115], v144
	ds_load_b128 v[154:157], v136 offset:22000
	ds_load_b128 v[158:161], v136 offset:14000
	;; [unrolled: 1-line block ×8, first 2 shown]
	s_wait_loadcnt_dscnt 0x170c
	v_mul_f64_e32 v[186:187], v[110:111], v[2:3]
	v_mul_f64_e32 v[2:3], v[108:109], v[2:3]
	s_wait_loadcnt_dscnt 0x160b
	v_mul_f64_e32 v[188:189], v[106:107], v[14:15]
	v_mul_f64_e32 v[14:15], v[104:105], v[14:15]
	;; [unrolled: 3-line block ×3, first 2 shown]
	s_wait_loadcnt_dscnt 0x1406
	v_mul_f64_e32 v[196:197], v[160:161], v[42:43]
	s_wait_loadcnt 0x13
	v_mul_f64_e32 v[194:195], v[98:99], v[6:7]
	v_mul_f64_e32 v[6:7], v[96:97], v[6:7]
	;; [unrolled: 1-line block ×3, first 2 shown]
	s_wait_loadcnt_dscnt 0xf01
	v_mul_f64_e32 v[202:203], v[180:181], v[62:63]
	v_fma_f64 v[186:187], v[108:109], v[0:1], v[186:187]
	v_fma_f64 v[198:199], v[110:111], v[0:1], -v[2:3]
	ds_load_b128 v[0:3], v136 offset:28000
	v_mul_f64_e32 v[108:109], v[168:169], v[38:39]
	v_mul_f64_e32 v[38:39], v[166:167], v[38:39]
	v_fma_f64 v[200:201], v[106:107], v[12:13], -v[14:15]
	v_mul_f64_e32 v[14:15], v[176:177], v[34:35]
	v_fma_f64 v[190:191], v[100:101], v[8:9], v[190:191]
	v_fma_f64 v[192:193], v[102:103], v[8:9], -v[192:193]
	ds_load_b128 v[100:103], v136 offset:52000
	v_fma_f64 v[188:189], v[104:105], v[12:13], v[188:189]
	ds_load_b128 v[10:13], v136 offset:40000
	v_mul_f64_e32 v[34:35], v[174:175], v[34:35]
	s_wait_dscnt 0x3
	v_mul_f64_e32 v[8:9], v[184:185], v[26:27]
	v_mul_f64_e32 v[26:27], v[182:183], v[26:27]
	ds_load_b128 v[104:107], v136 offset:30000
	v_fma_f64 v[196:197], v[158:159], v[40:41], v[196:197]
	v_fma_f64 v[194:195], v[96:97], v[4:5], v[194:195]
	v_fma_f64 v[204:205], v[98:99], v[4:5], -v[6:7]
	ds_load_b128 v[96:99], v136 offset:18000
	v_mul_f64_e32 v[4:5], v[178:179], v[62:63]
	s_wait_loadcnt_dscnt 0xe04
	v_mul_f64_e32 v[6:7], v[2:3], v[82:83]
	v_mul_f64_e32 v[82:83], v[0:1], v[82:83]
	s_wait_loadcnt_dscnt 0xc03
	v_mul_f64_e32 v[216:217], v[100:101], v[74:75]
	v_fma_f64 v[206:207], v[160:161], v[40:41], -v[42:43]
	s_wait_dscnt 0x2
	v_mul_f64_e32 v[210:211], v[10:11], v[78:79]
	v_mul_f64_e32 v[208:209], v[12:13], v[78:79]
	v_fma_f64 v[40:41], v[178:179], v[60:61], v[202:203]
	v_fma_f64 v[212:213], v[166:167], v[36:37], v[108:109]
	v_fma_f64 v[214:215], v[168:169], v[36:37], -v[38:39]
	v_mul_f64_e32 v[38:39], v[102:103], v[74:75]
	v_fma_f64 v[174:175], v[174:175], v[32:33], v[14:15]
	s_wait_loadcnt_dscnt 0xb00
	v_mul_f64_e32 v[14:15], v[98:99], v[86:87]
	ds_load_b128 v[108:111], v136 offset:42000
	ds_load_b128 v[158:161], v136 offset:20000
	;; [unrolled: 1-line block ×3, first 2 shown]
	v_fma_f64 v[176:177], v[176:177], v[32:33], -v[34:35]
	v_fma_f64 v[182:183], v[182:183], v[24:25], v[8:9]
	v_fma_f64 v[184:185], v[184:185], v[24:25], -v[26:27]
	v_mul_f64_e32 v[8:9], v[96:97], v[86:87]
	s_wait_loadcnt 0xa
	v_mul_f64_e32 v[24:25], v[106:107], v[94:95]
	v_mul_f64_e32 v[32:33], v[104:105], v[94:95]
	v_fma_f64 v[42:43], v[180:181], v[60:61], -v[4:5]
	ds_load_b128 v[60:63], v136 offset:32000
	v_fma_f64 v[36:37], v[0:1], v[80:81], v[6:7]
	v_fma_f64 v[34:35], v[2:3], v[80:81], -v[82:83]
	ds_load_b128 v[78:81], v136 offset:44000
	v_fma_f64 v[2:3], v[102:103], v[72:73], -v[216:217]
	s_wait_loadcnt_dscnt 0x904
	v_mul_f64_e32 v[86:87], v[110:111], v[90:91]
	v_mul_f64_e32 v[90:91], v[108:109], v[90:91]
	v_fma_f64 v[4:5], v[12:13], v[76:77], -v[210:211]
	s_wait_loadcnt_dscnt 0x802
	v_mul_f64_e32 v[12:13], v[168:169], v[18:19]
	v_mul_f64_e32 v[94:95], v[166:167], v[18:19]
	v_fma_f64 v[6:7], v[10:11], v[76:77], v[208:209]
	ds_load_b128 v[74:77], v136 offset:56000
	v_fma_f64 v[0:1], v[100:101], v[72:73], v[38:39]
	ds_load_b128 v[100:103], v136
	s_wait_loadcnt 0x7
	v_mul_f64_e32 v[38:39], v[160:161], v[54:55]
	v_mul_f64_e32 v[54:55], v[158:159], v[54:55]
	s_wait_loadcnt_dscnt 0x603
	v_mul_f64_e32 v[178:179], v[62:63], v[50:51]
	v_fma_f64 v[18:19], v[96:97], v[84:85], v[14:15]
	v_mul_f64_e32 v[50:51], v[60:61], v[50:51]
	s_wait_loadcnt_dscnt 0x502
	v_mul_f64_e32 v[96:97], v[80:81], v[46:47]
	v_and_b32_e32 v14, 0xffff, v153
	v_and_b32_e32 v15, 0xffff, v152
	v_fma_f64 v[26:27], v[98:99], v[84:85], -v[8:9]
	ds_load_b128 v[82:85], v136 offset:58000
	v_mul_f64_e32 v[98:99], v[78:79], v[46:47]
	v_fma_f64 v[24:25], v[104:105], v[92:93], v[24:25]
	v_fma_f64 v[32:33], v[106:107], v[92:93], -v[32:33]
	s_wait_loadcnt_dscnt 0x402
	v_mul_f64_e32 v[106:107], v[76:77], v[22:23]
	v_mul_f64_e32 v[22:23], v[74:75], v[22:23]
	v_mul_u32_u24_e32 v180, 0x4b0, v14
	v_mul_u32_u24_e32 v181, 0x4b0, v15
	s_wait_loadcnt 0x2
	v_mul_f64_e32 v[152:153], v[162:163], v[70:71]
	v_add_f64_e64 v[202:203], v[206:207], -v[184:185]
	s_wait_dscnt 0x1
	v_add_f64_e32 v[92:93], v[100:101], v[186:187]
	v_add_f64_e32 v[104:105], v[102:103], v[198:199]
	v_add_f64_e64 v[208:209], v[196:197], -v[182:183]
	v_fma_f64 v[10:11], v[108:109], v[88:89], v[86:87]
	v_fma_f64 v[8:9], v[110:111], v[88:89], -v[90:91]
	v_mul_f64_e32 v[90:91], v[156:157], v[30:31]
	v_fma_f64 v[12:13], v[166:167], v[16:17], v[12:13]
	v_add_f64_e32 v[108:109], v[186:187], v[194:195]
	v_fma_f64 v[14:15], v[168:169], v[16:17], -v[94:95]
	v_add_f64_e32 v[94:95], v[198:199], v[204:205]
	v_mul_f64_e32 v[30:31], v[154:155], v[30:31]
	v_mul_f64_e32 v[110:111], v[164:165], v[70:71]
	v_lshlrev_b32_e32 v168, 4, v150
	ds_load_b128 v[70:73], v142
	ds_load_b128 v[86:89], v140
	v_fma_f64 v[158:159], v[158:159], v[52:53], v[38:39]
	v_fma_f64 v[160:161], v[160:161], v[52:53], -v[54:55]
	v_lshlrev_b32_e32 v54, 4, v151
	v_fma_f64 v[150:151], v[60:61], v[48:49], v[178:179]
	v_fma_f64 v[166:167], v[62:63], v[48:49], -v[50:51]
	v_add_f64_e32 v[38:39], v[188:189], v[190:191]
	v_add_f64_e32 v[52:53], v[200:201], v[192:193]
	v_fma_f64 v[46:47], v[78:79], v[44:45], v[96:97]
	v_add_f64_e32 v[60:61], v[196:197], v[182:183]
	v_add_f64_e32 v[62:63], v[212:213], v[174:175]
	;; [unrolled: 1-line block ×4, first 2 shown]
	v_fma_f64 v[44:45], v[80:81], v[44:45], -v[98:99]
	s_wait_loadcnt 0x1
	v_mul_f64_e32 v[98:99], v[172:173], v[58:59]
	v_mul_f64_e32 v[58:59], v[170:171], v[58:59]
	v_fma_f64 v[16:17], v[74:75], v[20:21], v[106:107]
	v_fma_f64 v[20:21], v[76:77], v[20:21], -v[22:23]
	s_wait_dscnt 0x1
	v_add_f64_e32 v[74:75], v[70:71], v[196:197]
	v_add_f64_e32 v[76:77], v[72:73], v[206:207]
	;; [unrolled: 1-line block ×4, first 2 shown]
	s_wait_loadcnt 0x0
	v_mul_f64_e32 v[104:105], v[84:85], v[66:67]
	v_mul_f64_e32 v[66:67], v[82:83], v[66:67]
	v_add3_u32 v55, 0, v180, v168
	v_add3_u32 v54, 0, v181, v54
	v_add_f64_e64 v[168:169], v[186:187], -v[194:195]
	v_add_f64_e32 v[180:181], v[40:41], v[0:1]
	v_fma_f64 v[48:49], v[154:155], v[28:29], v[90:91]
	v_add_f64_e64 v[90:91], v[200:201], -v[192:193]
	v_fma_f64 v[106:107], v[108:109], -0.5, v[100:101]
	v_add_f64_e64 v[108:109], v[188:189], -v[190:191]
	v_fma_f64 v[94:95], v[94:95], -0.5, v[102:103]
	v_fma_f64 v[154:155], v[156:157], v[28:29], -v[30:31]
	v_fma_f64 v[50:51], v[162:163], v[68:69], v[110:111]
	v_fma_f64 v[110:111], v[164:165], v[68:69], -v[152:153]
	v_add_f64_e64 v[68:69], v[188:189], -v[186:187]
	v_add_f64_e64 v[152:153], v[190:191], -v[194:195]
	;; [unrolled: 1-line block ×6, first 2 shown]
	s_wait_dscnt 0x0
	v_add_f64_e32 v[222:223], v[88:89], v[42:43]
	v_add_f64_e32 v[216:217], v[26:27], v[14:15]
	v_fma_f64 v[100:101], v[38:39], -0.5, v[100:101]
	v_fma_f64 v[102:103], v[52:53], -0.5, v[102:103]
	v_add_f64_e64 v[52:53], v[36:37], -v[6:7]
	v_fma_f64 v[60:61], v[60:61], -0.5, v[70:71]
	v_fma_f64 v[62:63], v[62:63], -0.5, v[70:71]
	;; [unrolled: 1-line block ×4, first 2 shown]
	v_add_f64_e32 v[96:97], v[42:43], v[2:3]
	v_fma_f64 v[38:39], v[170:171], v[56:57], v[98:99]
	v_fma_f64 v[30:31], v[172:173], v[56:57], -v[58:59]
	v_add_f64_e64 v[98:99], v[212:213], -v[196:197]
	v_add_f64_e32 v[218:219], v[158:159], v[16:17]
	v_add_f64_e32 v[74:75], v[74:75], v[212:213]
	;; [unrolled: 1-line block ×4, first 2 shown]
	v_add_f64_e64 v[92:93], v[212:213], -v[174:175]
	v_fma_f64 v[22:23], v[82:83], v[64:65], v[104:105]
	v_fma_f64 v[28:29], v[84:85], v[64:65], -v[66:67]
	v_add_f64_e64 v[64:65], v[186:187], -v[188:189]
	v_add_f64_e32 v[66:67], v[76:77], v[214:215]
	v_add_f64_e64 v[76:77], v[194:195], -v[190:191]
	v_add_f64_e64 v[82:83], v[198:199], -v[200:201]
	;; [unrolled: 1-line block ×3, first 2 shown]
	v_fma_f64 v[170:171], v[90:91], s[10:11], v[106:107]
	v_fma_f64 v[106:107], v[90:91], s[4:5], v[106:107]
	;; [unrolled: 1-line block ×3, first 2 shown]
	v_add_f64_e64 v[186:187], v[214:215], -v[206:207]
	v_fma_f64 v[94:95], v[108:109], s[10:11], v[94:95]
	v_add_f64_e64 v[188:189], v[176:177], -v[184:185]
	v_add_f64_e64 v[190:191], v[206:207], -v[214:215]
	;; [unrolled: 1-line block ×6, first 2 shown]
	v_add_f64_e32 v[68:69], v[68:69], v[152:153]
	v_add_f64_e32 v[152:153], v[156:157], v[162:163]
	v_fma_f64 v[156:157], v[180:181], -0.5, v[86:87]
	v_fma_f64 v[162:163], v[164:165], s[4:5], v[100:101]
	v_fma_f64 v[180:181], v[168:169], s[10:11], v[102:103]
	;; [unrolled: 1-line block ×3, first 2 shown]
	v_add_f64_e64 v[104:105], v[174:175], -v[182:183]
	v_fma_f64 v[206:207], v[202:203], s[4:5], v[62:63]
	v_fma_f64 v[100:101], v[164:165], s[10:11], v[100:101]
	;; [unrolled: 1-line block ×3, first 2 shown]
	v_fma_f64 v[96:97], v[96:97], -0.5, v[88:89]
	v_fma_f64 v[70:71], v[208:209], s[4:5], v[70:71]
	v_add_f64_e32 v[214:215], v[18:19], v[12:13]
	v_add_f64_e32 v[74:75], v[74:75], v[174:175]
	v_add_f64_e64 v[174:175], v[36:37], -v[40:41]
	v_add_f64_e32 v[56:57], v[78:79], v[194:195]
	v_fma_f64 v[78:79], v[178:179], s[10:11], v[60:61]
	v_fma_f64 v[60:61], v[178:179], s[4:5], v[60:61]
	v_add_f64_e32 v[58:59], v[80:81], v[204:205]
	v_fma_f64 v[80:81], v[92:93], s[4:5], v[72:73]
	v_fma_f64 v[72:73], v[92:93], s[10:11], v[72:73]
	v_add_f64_e32 v[66:67], v[66:67], v[176:177]
	v_add_f64_e64 v[176:177], v[6:7], -v[0:1]
	v_add_f64_e32 v[76:77], v[64:65], v[76:77]
	v_add_f64_e64 v[194:195], v[34:35], -v[42:43]
	v_fma_f64 v[64:65], v[202:203], s[10:11], v[62:63]
	v_fma_f64 v[170:171], v[164:165], s[12:13], v[170:171]
	;; [unrolled: 1-line block ×4, first 2 shown]
	v_add_f64_e64 v[172:173], v[4:5], -v[2:3]
	v_fma_f64 v[94:95], v[168:169], s[12:13], v[94:95]
	v_add_f64_e64 v[168:169], v[42:43], -v[2:3]
	v_add_f64_e32 v[82:83], v[82:83], v[84:85]
	v_add_f64_e32 v[186:187], v[186:187], v[188:189]
	v_add_f64_e64 v[188:189], v[40:41], -v[0:1]
	v_add_f64_e32 v[192:193], v[192:193], v[196:197]
	v_add_f64_e32 v[190:191], v[190:191], v[198:199]
	;; [unrolled: 1-line block ×3, first 2 shown]
	v_fma_f64 v[198:199], v[200:201], s[10:11], v[156:157]
	v_fma_f64 v[162:163], v[90:91], s[12:13], v[162:163]
	;; [unrolled: 1-line block ×6, first 2 shown]
	v_add_f64_e32 v[98:99], v[98:99], v[104:105]
	v_add_f64_e32 v[104:105], v[34:35], v[4:5]
	v_fma_f64 v[212:213], v[52:53], s[4:5], v[96:97]
	v_fma_f64 v[96:97], v[52:53], s[10:11], v[96:97]
	;; [unrolled: 1-line block ×5, first 2 shown]
	v_add_f64_e32 v[196:197], v[24:25], v[10:11]
	v_add_f64_e32 v[100:101], v[32:33], v[8:9]
	;; [unrolled: 1-line block ×3, first 2 shown]
	v_fma_f64 v[206:207], v[202:203], s[12:13], v[78:79]
	v_fma_f64 v[202:203], v[202:203], s[16:17], v[60:61]
	v_add_f64_e32 v[60:61], v[74:75], v[182:183]
	v_fma_f64 v[210:211], v[208:209], s[16:17], v[80:81]
	v_fma_f64 v[208:209], v[208:209], s[12:13], v[72:73]
	v_add_f64_e32 v[62:63], v[66:67], v[184:185]
	v_add_f64_e32 v[182:183], v[150:151], v[46:47]
	;; [unrolled: 1-line block ×4, first 2 shown]
	v_fma_f64 v[178:179], v[178:179], s[16:17], v[64:65]
	v_fma_f64 v[64:65], v[68:69], s[14:15], v[170:171]
	;; [unrolled: 1-line block ×4, first 2 shown]
	v_add_f64_e32 v[164:165], v[160:161], v[20:21]
	v_add_f64_e32 v[172:173], v[194:195], v[172:173]
	v_fma_f64 v[70:71], v[152:153], s[14:15], v[94:95]
	v_add_f64_e32 v[106:107], v[48:49], v[22:23]
	v_add_f64_e32 v[152:153], v[86:87], v[40:41]
	;; [unrolled: 1-line block ×3, first 2 shown]
	v_add_f64_e64 v[194:195], v[42:43], -v[34:35]
	v_add_f64_e32 v[34:35], v[222:223], v[34:35]
	v_fma_f64 v[170:171], v[84:85], -0.5, v[86:87]
	v_fma_f64 v[72:73], v[76:77], s[14:15], v[162:163]
	v_fma_f64 v[74:75], v[82:83], s[14:15], v[180:181]
	v_fma_f64 v[180:181], v[168:169], s[12:13], v[198:199]
	v_fma_f64 v[78:79], v[82:83], s[14:15], v[102:103]
	v_fma_f64 v[80:81], v[192:193], s[14:15], v[108:109]
	v_fma_f64 v[108:109], v[168:169], s[16:17], v[156:157]
	v_fma_f64 v[104:105], v[104:105], -0.5, v[88:89]
	v_fma_f64 v[102:103], v[188:189], s[16:17], v[212:213]
	v_fma_f64 v[156:157], v[188:189], s[12:13], v[96:97]
	v_fma_f64 v[76:77], v[76:77], s[14:15], v[90:91]
	ds_load_b128 v[88:91], v141
	v_fma_f64 v[82:83], v[190:191], s[14:15], v[204:205]
	v_add_f64_e32 v[162:163], v[110:111], v[30:31]
	v_fma_f64 v[42:43], v[190:191], s[14:15], v[220:221]
	v_fma_f64 v[212:213], v[224:225], -0.5, v[114:115]
	v_fma_f64 v[84:85], v[98:99], s[14:15], v[206:207]
	v_fma_f64 v[92:93], v[98:99], s[14:15], v[202:203]
	ds_load_b128 v[96:99], v139
	v_fma_f64 v[86:87], v[186:187], s[14:15], v[210:211]
	v_fma_f64 v[94:95], v[186:187], s[14:15], v[208:209]
	global_wb scope:SCOPE_SE
	s_wait_dscnt 0x0
	s_barrier_signal -1
	s_barrier_wait -1
	global_inv scope:SCOPE_SE
	v_add_f64_e64 v[186:187], v[40:41], -v[36:37]
	v_fma_f64 v[40:41], v[192:193], s[14:15], v[178:179]
	v_add_f64_e64 v[178:179], v[0:1], -v[6:7]
	ds_store_b128 v55, v[56:59]
	v_add_f64_e64 v[56:57], v[26:27], -v[32:33]
	v_add_f64_e64 v[58:59], v[14:15], -v[8:9]
	ds_store_b128 v55, v[64:67] offset:480
	ds_store_b128 v55, v[68:71] offset:720
	v_add_f64_e64 v[64:65], v[32:33], -v[26:27]
	v_add_f64_e64 v[66:67], v[8:9], -v[14:15]
	v_add_f64_e32 v[190:191], v[88:89], v[18:19]
	v_fma_f64 v[192:193], v[196:197], -0.5, v[88:89]
	v_fma_f64 v[100:101], v[100:101], -0.5, v[90:91]
	v_add_f64_e32 v[204:205], v[96:97], v[158:159]
	v_fma_f64 v[182:183], v[182:183], -0.5, v[96:97]
	v_fma_f64 v[184:185], v[184:185], -0.5, v[98:99]
	;; [unrolled: 1-line block ×4, first 2 shown]
	v_add_f64_e32 v[208:209], v[98:99], v[160:161]
	v_fma_f64 v[96:97], v[174:175], s[14:15], v[108:109]
	v_add_f64_e64 v[108:109], v[18:19], -v[24:25]
	ds_store_b128 v55, v[72:75] offset:240
	v_fma_f64 v[98:99], v[172:173], s[14:15], v[156:157]
	v_add_f64_e64 v[156:157], v[12:13], -v[10:11]
	v_add_f64_e64 v[72:73], v[24:25], -v[18:19]
	;; [unrolled: 1-line block ×3, first 2 shown]
	v_fma_f64 v[196:197], v[214:215], -0.5, v[88:89]
	v_fma_f64 v[198:199], v[216:217], -0.5, v[90:91]
	v_add_f64_e32 v[202:203], v[90:91], v[26:27]
	v_add_f64_e32 v[210:211], v[112:113], v[48:49]
	v_fma_f64 v[106:107], v[106:107], -0.5, v[112:113]
	v_fma_f64 v[112:113], v[176:177], -0.5, v[112:113]
	v_fma_f64 v[88:89], v[174:175], s[14:15], v[180:181]
	v_fma_f64 v[90:91], v[172:173], s[14:15], v[102:103]
	v_add_f64_e32 v[36:37], v[152:153], v[36:37]
	v_add_f64_e64 v[152:153], v[158:159], -v[150:151]
	v_add_f64_e64 v[172:173], v[16:17], -v[46:47]
	;; [unrolled: 1-line block ×3, first 2 shown]
	v_fma_f64 v[162:163], v[162:163], -0.5, v[114:115]
	v_add_f64_e32 v[114:115], v[114:115], v[154:155]
	v_add_f64_e32 v[174:175], v[186:187], v[178:179]
	v_add_f64_e64 v[178:179], v[20:21], -v[44:45]
	v_add_f64_e64 v[102:103], v[2:3], -v[4:5]
	v_add_f64_e32 v[56:57], v[56:57], v[58:59]
	v_add_f64_e64 v[58:59], v[46:47], -v[16:17]
	v_add_f64_e64 v[26:27], v[26:27], -v[14:15]
	;; [unrolled: 1-line block ×3, first 2 shown]
	v_add_f64_e32 v[64:65], v[64:65], v[66:67]
	v_add_f64_e64 v[66:67], v[44:45], -v[20:21]
	v_add_f64_e32 v[180:181], v[190:191], v[24:25]
	v_add_f64_e64 v[24:25], v[24:25], -v[10:11]
	v_add_f64_e32 v[190:191], v[204:205], v[150:151]
	v_add_f64_e32 v[4:5], v[34:35], v[4:5]
	ds_store_b128 v55, v[76:79] offset:960
	ds_store_b128 v54, v[60:63]
	ds_store_b128 v54, v[80:83] offset:240
	ds_store_b128 v54, v[84:87] offset:480
	;; [unrolled: 1-line block ×4, first 2 shown]
	v_add_f64_e32 v[108:109], v[108:109], v[156:157]
	v_add_f64_e64 v[156:157], v[150:151], -v[158:159]
	v_add_f64_e32 v[72:73], v[72:73], v[74:75]
	v_add_f64_e64 v[74:75], v[166:167], -v[160:161]
	v_add_f64_e64 v[150:151], v[150:151], -v[46:47]
	v_add_f64_e32 v[186:187], v[202:203], v[32:33]
	v_add_f64_e64 v[32:33], v[32:33], -v[8:9]
	v_add_f64_e64 v[160:161], v[160:161], -v[20:21]
	;; [unrolled: 1-line block ×3, first 2 shown]
	v_add_f64_e32 v[6:7], v[36:37], v[6:7]
	v_add_f64_e32 v[152:153], v[152:153], v[172:173]
	v_add_f64_e64 v[172:173], v[50:51], -v[48:49]
	v_add_f64_e32 v[176:177], v[176:177], v[178:179]
	v_add_f64_e64 v[178:179], v[38:39], -v[22:23]
	v_add_f64_e32 v[102:103], v[194:195], v[102:103]
	v_add_f64_e32 v[194:195], v[208:209], v[166:167]
	v_add_f64_e64 v[166:167], v[166:167], -v[44:45]
	v_fma_f64 v[36:37], v[26:27], s[4:5], v[192:193]
	v_fma_f64 v[192:193], v[26:27], s[10:11], v[192:193]
	;; [unrolled: 1-line block ×3, first 2 shown]
	v_add_f64_e32 v[180:181], v[180:181], v[10:11]
	v_fma_f64 v[100:101], v[18:19], s[4:5], v[100:101]
	v_add_f64_e32 v[190:191], v[190:191], v[46:47]
	v_add_f64_e64 v[46:47], v[22:23], -v[38:39]
	v_add_f64_e32 v[2:3], v[4:5], v[2:3]
	v_add_f64_e32 v[156:157], v[156:157], v[58:59]
	v_add_f64_e64 v[58:59], v[110:111], -v[154:155]
	v_add_f64_e32 v[66:67], v[74:75], v[66:67]
	v_add_f64_e64 v[74:75], v[30:31], -v[28:29]
	v_add_f64_e32 v[186:187], v[186:187], v[8:9]
	v_fma_f64 v[10:11], v[32:33], s[10:11], v[196:197]
	v_fma_f64 v[8:9], v[24:25], s[4:5], v[198:199]
	;; [unrolled: 1-line block ×8, first 2 shown]
	v_add_f64_e32 v[0:1], v[6:7], v[0:1]
	v_add_f64_e32 v[172:173], v[172:173], v[178:179]
	v_add_f64_e64 v[178:179], v[110:111], -v[30:31]
	v_add_f64_e32 v[194:195], v[194:195], v[44:45]
	v_fma_f64 v[204:205], v[166:167], s[4:5], v[206:207]
	v_add_f64_e64 v[44:45], v[28:29], -v[30:31]
	v_fma_f64 v[36:37], v[32:33], s[12:13], v[36:37]
	v_fma_f64 v[32:33], v[32:33], s[16:17], v[192:193]
	;; [unrolled: 1-line block ×4, first 2 shown]
	v_add_f64_e32 v[12:13], v[180:181], v[12:13]
	v_add_f64_e32 v[16:17], v[190:191], v[16:17]
	;; [unrolled: 1-line block ×3, first 2 shown]
	v_fma_f64 v[58:59], v[168:169], s[4:5], v[170:171]
	v_fma_f64 v[74:75], v[168:169], s[10:11], v[170:171]
	v_add_f64_e64 v[168:169], v[154:155], -v[110:111]
	v_add_f64_e32 v[110:111], v[114:115], v[110:111]
	v_fma_f64 v[114:115], v[188:189], s[10:11], v[104:105]
	v_fma_f64 v[104:105], v[188:189], s[4:5], v[104:105]
	v_add_f64_e64 v[154:155], v[154:155], -v[28:29]
	v_add_f64_e64 v[170:171], v[50:51], -v[38:39]
	v_add_f64_e32 v[188:189], v[210:211], v[50:51]
	v_add_f64_e64 v[50:51], v[48:49], -v[50:51]
	v_add_f64_e64 v[48:49], v[48:49], -v[22:23]
	v_fma_f64 v[208:209], v[18:19], s[16:17], v[8:9]
	v_fma_f64 v[196:197], v[26:27], s[16:17], v[196:197]
	;; [unrolled: 1-line block ×10, first 2 shown]
	v_add_f64_e32 v[14:15], v[186:187], v[14:15]
	v_fma_f64 v[58:59], v[200:201], s[12:13], v[58:59]
	v_fma_f64 v[74:75], v[200:201], s[16:17], v[74:75]
	;; [unrolled: 1-line block ×14, first 2 shown]
	v_add_f64_e32 v[38:39], v[188:189], v[38:39]
	v_add_f64_e32 v[110:111], v[110:111], v[30:31]
	v_fma_f64 v[106:107], v[154:155], s[16:17], v[106:107]
	v_fma_f64 v[30:31], v[108:109], s[14:15], v[32:33]
	v_fma_f64 v[32:33], v[56:57], s[14:15], v[100:101]
	v_fma_f64 v[4:5], v[174:175], s[14:15], v[58:59]
	v_fma_f64 v[76:77], v[160:161], s[12:13], v[200:201]
	v_fma_f64 v[6:7], v[102:103], s[14:15], v[114:115]
	v_fma_f64 v[80:81], v[158:159], s[16:17], v[104:105]
	v_fma_f64 v[82:83], v[158:159], s[12:13], v[164:165]
	v_fma_f64 v[104:105], v[154:155], s[12:13], v[192:193]
	v_add_f64_e32 v[154:155], v[50:51], v[46:47]
	v_add_f64_e32 v[158:159], v[168:169], v[44:45]
	v_fma_f64 v[160:161], v[178:179], s[12:13], v[10:11]
	v_fma_f64 v[164:165], v[170:171], s[16:17], v[8:9]
	;; [unrolled: 1-line block ×15, first 2 shown]
	v_add_f64_e32 v[18:19], v[194:195], v[20:21]
	v_fma_f64 v[44:45], v[72:73], s[14:15], v[196:197]
	v_fma_f64 v[48:49], v[152:153], s[14:15], v[68:69]
	;; [unrolled: 1-line block ×4, first 2 shown]
	v_add_f64_e32 v[71:72], v[38:39], v[22:23]
	v_add_f64_e32 v[73:74], v[110:111], v[28:29]
	v_fma_f64 v[20:21], v[172:173], s[14:15], v[106:107]
	v_add3_u32 v38, 0, v134, v135
	ds_store_b128 v38, v[0:3]
	ds_store_b128 v38, v[4:7] offset:240
	ds_store_b128 v38, v[88:91] offset:480
	;; [unrolled: 1-line block ×4, first 2 shown]
	v_fma_f64 v[59:60], v[156:157], s[14:15], v[76:77]
	v_fma_f64 v[61:62], v[66:67], s[14:15], v[80:81]
	;; [unrolled: 1-line block ×10, first 2 shown]
	v_add_nc_u32_e32 v2, 0xffffffb5, v120
	v_mul_u32_u24_e32 v28, 0x4b0, v146
	v_lshlrev_b32_e32 v29, 4, v147
	v_mul_u32_u24_e32 v0, 0x4b0, v148
	v_lshlrev_b32_e32 v1, 4, v149
	s_wait_alu 0xf1ff
	v_cndmask_b32_e64 v147, v2, v120, s0
	v_lshlrev_b32_e32 v2, 4, v119
	v_add3_u32 v28, 0, v28, v29
	v_mov_b32_e32 v135, 0
	v_add3_u32 v0, 0, v0, v1
	v_mul_u32_u24_e32 v1, 0x4b0, v118
	v_mul_i32_i24_e32 v134, 9, v147
	ds_store_b128 v28, v[12:15]
	ds_store_b128 v28, v[24:27] offset:240
	ds_store_b128 v28, v[34:37] offset:480
	;; [unrolled: 1-line block ×4, first 2 shown]
	ds_store_b128 v0, v[16:19]
	ds_store_b128 v0, v[48:51] offset:240
	v_add3_u32 v2, 0, v1, v2
	ds_store_b128 v0, v[59:62] offset:480
	ds_store_b128 v0, v[63:66] offset:720
	;; [unrolled: 1-line block ×3, first 2 shown]
	v_lshlrev_b64_e32 v[0:1], 4, v[134:135]
	ds_store_b128 v2, v[71:74]
	ds_store_b128 v2, v[75:78] offset:240
	ds_store_b128 v2, v[67:70] offset:480
	;; [unrolled: 1-line block ×4, first 2 shown]
	global_wb scope:SCOPE_SE
	s_wait_dscnt 0x0
	s_barrier_signal -1
	v_add_co_u32 v28, s0, s8, v0
	s_wait_alu 0xf1ff
	v_add_co_ci_u32_e64 v29, s0, s9, v1, s0
	s_barrier_wait -1
	global_inv scope:SCOPE_SE
	s_clause 0x5
	global_load_b128 v[12:15], v[28:29], off offset:1152
	global_load_b128 v[8:11], v[28:29], off offset:1168
	;; [unrolled: 1-line block ×6, first 2 shown]
	v_mul_lo_u16 v24, 0xdb, v117
	global_load_b128 v[32:35], v[28:29], off offset:1248
	v_mul_u32_u24_e32 v44, 0xb4e9, v116
	v_lshl_add_u32 v146, v128, 4, 0
	v_cmp_lt_u32_e64 s0, 0x4a, v120
	v_lshrrev_b16 v148, 14, v24
	global_load_b128 v[24:27], v[28:29], off offset:1264
	v_lshrrev_b32_e32 v48, 16, v44
	v_mul_lo_u16 v30, 0x4b, v148
	s_delay_alu instid0(VALU_DEP_2) | instskip(NEXT) | instid1(VALU_DEP_2)
	v_sub_nc_u16 v49, v133, v48
	v_sub_nc_u16 v30, v122, v30
	s_delay_alu instid0(VALU_DEP_2) | instskip(NEXT) | instid1(VALU_DEP_2)
	v_lshrrev_b16 v49, 1, v49
	v_and_b32_e32 v134, 0xff, v30
	global_load_b128 v[28:31], v[28:29], off offset:1280
	v_add_nc_u16 v48, v49, v48
	v_mul_u32_u24_e32 v36, 9, v134
	s_delay_alu instid0(VALU_DEP_2) | instskip(NEXT) | instid1(VALU_DEP_2)
	v_lshrrev_b16 v150, 6, v48
	v_lshlrev_b32_e32 v68, 4, v36
	s_clause 0x4
	global_load_b128 v[36:39], v68, s[8:9] offset:1152
	global_load_b128 v[40:43], v68, s[8:9] offset:1168
	;; [unrolled: 1-line block ×5, first 2 shown]
	v_mul_lo_u16 v48, 0x4b, v150
	s_delay_alu instid0(VALU_DEP_1) | instskip(NEXT) | instid1(VALU_DEP_1)
	v_sub_nc_u16 v48, v133, v48
	v_and_b32_e32 v149, 0xffff, v48
	global_load_b128 v[48:51], v68, s[8:9] offset:1264
	v_mul_u32_u24_e32 v60, 9, v149
	s_delay_alu instid0(VALU_DEP_1)
	v_lshlrev_b32_e32 v104, 4, v60
	s_clause 0xb
	global_load_b128 v[60:63], v104, s[8:9] offset:1168
	global_load_b128 v[64:67], v104, s[8:9] offset:1200
	;; [unrolled: 1-line block ×12, first 2 shown]
	ds_load_b128 v[116:119], v141
	ds_load_b128 v[112:115], v145
	ds_load_b128 v[108:111], v146
	ds_load_b128 v[151:154], v140
	ds_load_b128 v[155:158], v136 offset:24000
	ds_load_b128 v[159:162], v136 offset:30000
	;; [unrolled: 1-line block ×8, first 2 shown]
	s_wait_loadcnt_dscnt 0x1a0b
	v_mul_f64_e32 v[187:188], v[118:119], v[14:15]
	v_mul_f64_e32 v[14:15], v[116:117], v[14:15]
	s_wait_loadcnt_dscnt 0x190a
	v_mul_f64_e32 v[189:190], v[114:115], v[10:11]
	v_mul_f64_e32 v[191:192], v[112:113], v[10:11]
	;; [unrolled: 3-line block ×4, first 2 shown]
	s_wait_loadcnt_dscnt 0x1606
	v_mul_f64_e32 v[203:204], v[159:160], v[22:23]
	s_wait_loadcnt_dscnt 0x1505
	v_mul_f64_e32 v[207:208], v[163:164], v[18:19]
	v_mul_f64_e32 v[201:202], v[161:162], v[22:23]
	v_fma_f64 v[187:188], v[116:117], v[12:13], v[187:188]
	v_fma_f64 v[205:206], v[118:119], v[12:13], -v[14:15]
	v_mul_f64_e32 v[14:15], v[165:166], v[18:19]
	ds_load_b128 v[10:13], v136 offset:54000
	v_fma_f64 v[22:23], v[112:113], v[8:9], v[189:190]
	v_fma_f64 v[112:113], v[114:115], v[8:9], -v[191:192]
	ds_load_b128 v[6:9], v136 offset:44000
	v_fma_f64 v[114:115], v[108:109], v[4:5], v[193:194]
	v_fma_f64 v[108:109], v[110:111], v[4:5], -v[195:196]
	ds_load_b128 v[2:5], v136 offset:8000
	ds_load_b128 v[116:119], v136 offset:46000
	s_wait_loadcnt_dscnt 0x1407
	v_mul_f64_e32 v[189:190], v[173:174], v[34:35]
	v_mul_f64_e32 v[34:35], v[171:172], v[34:35]
	v_fma_f64 v[110:111], v[155:156], v[0:1], v[197:198]
	v_fma_f64 v[191:192], v[157:158], v[0:1], -v[199:200]
	s_wait_loadcnt_dscnt 0x1305
	v_mul_f64_e32 v[0:1], v[181:182], v[26:27]
	v_mul_f64_e32 v[193:194], v[179:180], v[26:27]
	v_fma_f64 v[197:198], v[161:162], v[20:21], -v[203:204]
	v_fma_f64 v[207:208], v[165:166], v[16:17], -v[207:208]
	v_fma_f64 v[195:196], v[159:160], v[20:21], v[201:202]
	ds_load_b128 v[155:158], v136 offset:56000
	ds_load_b128 v[18:21], v136 offset:10000
	s_wait_loadcnt_dscnt 0x1205
	v_mul_f64_e32 v[199:200], v[12:13], v[30:31]
	v_mul_f64_e32 v[201:202], v[10:11], v[30:31]
	s_wait_loadcnt_dscnt 0x1103
	v_mul_f64_e32 v[209:210], v[4:5], v[38:39]
	v_mul_f64_e32 v[38:39], v[2:3], v[38:39]
	v_fma_f64 v[203:204], v[163:164], v[16:17], v[14:15]
	ds_load_b128 v[14:17], v136 offset:14000
	ds_load_b128 v[159:162], v136 offset:20000
	;; [unrolled: 1-line block ×3, first 2 shown]
	v_fma_f64 v[189:190], v[171:172], v[32:33], v[189:190]
	v_fma_f64 v[211:212], v[173:174], v[32:33], -v[34:35]
	ds_load_b128 v[171:174], v136 offset:22000
	v_fma_f64 v[26:27], v[179:180], v[24:25], v[0:1]
	v_fma_f64 v[30:31], v[181:182], v[24:25], -v[193:194]
	s_wait_loadcnt 0xe
	v_mul_f64_e32 v[181:182], v[169:170], v[46:47]
	s_wait_dscnt 0x3
	v_mul_f64_e32 v[24:25], v[16:17], v[42:43]
	v_mul_f64_e32 v[34:35], v[14:15], v[42:43]
	v_fma_f64 v[32:33], v[10:11], v[28:29], v[199:200]
	s_wait_dscnt 0x2
	v_mul_f64_e32 v[179:180], v[161:162], v[54:55]
	v_mul_f64_e32 v[54:55], v[159:160], v[54:55]
	v_fma_f64 v[193:194], v[2:3], v[36:37], v[209:210]
	ds_load_b128 v[0:3], v136 offset:38000
	v_fma_f64 v[199:200], v[4:5], v[36:37], -v[38:39]
	v_mul_f64_e32 v[4:5], v[167:168], v[46:47]
	v_fma_f64 v[28:29], v[12:13], v[28:29], -v[201:202]
	ds_load_b128 v[10:13], v136 offset:50000
	v_fma_f64 v[42:43], v[14:15], v[40:41], v[24:25]
	v_fma_f64 v[38:39], v[16:17], v[40:41], -v[34:35]
	ds_load_b128 v[34:37], v136 offset:52000
	ds_load_b128 v[14:17], v136 offset:40000
	s_wait_loadcnt_dscnt 0xd03
	v_mul_f64_e32 v[24:25], v[2:3], v[58:59]
	v_mul_f64_e32 v[58:59], v[0:1], v[58:59]
	v_fma_f64 v[46:47], v[159:160], v[52:53], v[179:180]
	v_fma_f64 v[40:41], v[161:162], v[52:53], -v[54:55]
	s_wait_loadcnt_dscnt 0xc02
	v_mul_f64_e32 v[52:53], v[12:13], v[50:51]
	v_mul_f64_e32 v[50:51], v[10:11], v[50:51]
	v_fma_f64 v[159:160], v[167:168], v[44:45], v[181:182]
	v_fma_f64 v[161:162], v[169:170], v[44:45], -v[4:5]
	s_wait_loadcnt 0xb
	v_mul_f64_e32 v[4:5], v[165:166], v[62:63]
	v_mul_f64_e32 v[44:45], v[163:164], v[62:63]
	s_wait_loadcnt 0xa
	v_mul_f64_e32 v[54:55], v[177:178], v[66:67]
	v_mul_f64_e32 v[62:63], v[175:176], v[66:67]
	v_add_f64_e64 v[169:170], v[110:111], -v[22:23]
	v_add_f64_e64 v[179:180], v[189:190], -v[32:33]
	;; [unrolled: 1-line block ×3, first 2 shown]
	v_fma_f64 v[66:67], v[0:1], v[56:57], v[24:25]
	v_fma_f64 v[56:57], v[2:3], v[56:57], -v[58:59]
	ds_load_b128 v[0:3], v136 offset:32000
	s_wait_loadcnt_dscnt 0x901
	v_mul_f64_e32 v[24:25], v[16:17], v[98:99]
	v_mul_f64_e32 v[58:59], v[14:15], v[98:99]
	v_fma_f64 v[98:99], v[10:11], v[48:49], v[52:53]
	v_fma_f64 v[167:168], v[12:13], v[48:49], -v[50:51]
	s_wait_loadcnt 0x8
	v_mul_f64_e32 v[10:11], v[36:37], v[102:103]
	v_mul_f64_e32 v[12:13], v[34:35], v[102:103]
	v_fma_f64 v[102:103], v[163:164], v[60:61], v[4:5]
	v_fma_f64 v[60:61], v[165:166], v[60:61], -v[44:45]
	v_fma_f64 v[163:164], v[175:176], v[64:65], v[54:55]
	ds_load_b128 v[52:55], v136 offset:58000
	v_fma_f64 v[62:63], v[177:178], v[64:65], -v[62:63]
	s_wait_loadcnt 0x5
	v_mul_f64_e32 v[64:65], v[157:158], v[86:87]
	v_mul_f64_e32 v[86:87], v[155:156], v[86:87]
	ds_load_b128 v[48:51], v142
	v_add_f64_e64 v[177:178], v[195:196], -v[114:115]
	s_wait_dscnt 0x2
	v_mul_f64_e32 v[4:5], v[2:3], v[94:95]
	v_mul_f64_e32 v[44:45], v[0:1], v[94:95]
	;; [unrolled: 1-line block ×4, first 2 shown]
	s_wait_dscnt 0x0
	v_add_f64_e32 v[209:210], v[48:49], v[42:43]
	v_fma_f64 v[165:166], v[14:15], v[96:97], v[24:25]
	v_fma_f64 v[58:59], v[16:17], v[96:97], -v[58:59]
	s_wait_loadcnt 0x4
	v_mul_f64_e32 v[14:15], v[20:21], v[82:83]
	v_mul_f64_e32 v[16:17], v[18:19], v[82:83]
	v_fma_f64 v[82:83], v[34:35], v[100:101], v[10:11]
	v_fma_f64 v[96:97], v[36:37], v[100:101], -v[12:13]
	s_wait_loadcnt 0x2
	v_mul_f64_e32 v[10:11], v[185:186], v[74:75]
	v_mul_f64_e32 v[34:35], v[183:184], v[74:75]
	s_wait_loadcnt 0x1
	v_mul_f64_e32 v[36:37], v[118:119], v[70:71]
	v_mul_f64_e32 v[24:25], v[173:174], v[78:79]
	;; [unrolled: 1-line block ×4, first 2 shown]
	v_fma_f64 v[64:65], v[155:156], v[84:85], v[64:65]
	v_fma_f64 v[84:85], v[157:158], v[84:85], -v[86:87]
	v_add_f64_e32 v[86:87], v[191:192], v[207:208]
	v_add_f64_e32 v[219:220], v[151:152], v[102:103]
	v_fma_f64 v[74:75], v[0:1], v[92:93], v[4:5]
	v_fma_f64 v[92:93], v[2:3], v[92:93], -v[44:45]
	ds_load_b128 v[2:5], v136
	s_wait_loadcnt 0x0
	v_mul_f64_e32 v[0:1], v[54:55], v[106:107]
	v_mul_f64_e32 v[44:45], v[52:53], v[106:107]
	v_fma_f64 v[94:95], v[6:7], v[88:89], v[94:95]
	v_fma_f64 v[88:89], v[8:9], v[88:89], -v[90:91]
	v_add_f64_e32 v[6:7], v[110:111], v[203:204]
	v_add_f64_e32 v[8:9], v[22:23], v[26:27]
	;; [unrolled: 1-line block ×3, first 2 shown]
	global_wb scope:SCOPE_SE
	s_wait_dscnt 0x0
	s_barrier_signal -1
	s_barrier_wait -1
	global_inv scope:SCOPE_SE
	v_add_f64_e32 v[209:210], v[209:210], v[159:160]
	v_fma_f64 v[100:101], v[18:19], v[80:81], v[14:15]
	v_fma_f64 v[80:81], v[20:21], v[80:81], -v[16:17]
	v_add_f64_e32 v[14:15], v[159:160], v[66:67]
	v_add_f64_e32 v[20:21], v[38:39], v[167:168]
	v_fma_f64 v[157:158], v[183:184], v[72:73], v[10:11]
	v_fma_f64 v[72:73], v[185:186], v[72:73], -v[34:35]
	v_fma_f64 v[116:117], v[116:117], v[68:69], v[36:37]
	v_add_f64_e64 v[10:11], v[22:23], -v[110:111]
	v_add_f64_e64 v[34:35], v[26:27], -v[203:204]
	;; [unrolled: 1-line block ×3, first 2 shown]
	v_add_f64_e32 v[18:19], v[161:162], v[56:57]
	v_fma_f64 v[12:13], v[173:174], v[76:77], -v[78:79]
	v_add_f64_e32 v[173:174], v[2:3], v[22:23]
	v_add_f64_e32 v[175:176], v[4:5], v[112:113]
	v_fma_f64 v[86:87], v[86:87], -0.5, v[4:5]
	v_fma_f64 v[106:107], v[171:172], v[76:77], v[24:25]
	v_add_f64_e32 v[24:25], v[163:164], v[165:166]
	v_add_f64_e32 v[76:77], v[102:103], v[82:83]
	;; [unrolled: 1-line block ×3, first 2 shown]
	v_fma_f64 v[68:69], v[118:119], v[68:69], -v[70:71]
	v_fma_f64 v[52:53], v[52:53], v[104:105], v[0:1]
	v_fma_f64 v[0:1], v[54:55], v[104:105], -v[44:45]
	v_add_f64_e64 v[44:45], v[30:31], -v[207:208]
	v_add_f64_e64 v[54:55], v[114:115], -v[195:196]
	v_fma_f64 v[185:186], v[6:7], -0.5, v[2:3]
	v_fma_f64 v[201:202], v[8:9], -0.5, v[2:3]
	;; [unrolled: 1-line block ×3, first 2 shown]
	v_add_f64_e64 v[2:3], v[191:192], -v[112:113]
	v_add_f64_e64 v[8:9], v[207:208], -v[30:31]
	;; [unrolled: 1-line block ×5, first 2 shown]
	v_add_f64_e32 v[16:17], v[42:43], v[98:99]
	v_add_f64_e64 v[171:172], v[203:204], -v[26:27]
	v_add_f64_e64 v[183:184], v[211:212], -v[28:29]
	v_add_f64_e32 v[78:79], v[62:63], v[58:59]
	v_add_f64_e64 v[112:113], v[112:113], -v[30:31]
	v_add_f64_e64 v[22:23], v[22:23], -v[26:27]
	v_fma_f64 v[213:214], v[14:15], -0.5, v[48:49]
	v_fma_f64 v[217:218], v[20:21], -0.5, v[50:51]
	v_add_f64_e64 v[14:15], v[98:99], -v[66:67]
	v_add_f64_e64 v[20:21], v[38:39], -v[161:162]
	v_add_f64_e32 v[4:5], v[10:11], v[34:35]
	v_add_f64_e64 v[10:11], v[42:43], -v[159:160]
	v_add_f64_e64 v[34:35], v[167:168], -v[56:57]
	v_fma_f64 v[215:216], v[18:19], -0.5, v[50:51]
	v_add_f64_e32 v[173:174], v[173:174], v[110:111]
	v_add_f64_e64 v[110:111], v[110:111], -v[203:204]
	v_add_f64_e32 v[50:51], v[50:51], v[38:39]
	v_add_f64_e32 v[175:176], v[175:176], v[191:192]
	v_fma_f64 v[221:222], v[24:25], -0.5, v[151:152]
	v_fma_f64 v[76:77], v[76:77], -0.5, v[151:152]
	;; [unrolled: 1-line block ×3, first 2 shown]
	v_add_f64_e64 v[155:156], v[84:85], -v[88:89]
	v_add_f64_e64 v[223:224], v[68:69], -v[0:1]
	v_add_f64_e32 v[6:7], v[36:37], v[44:45]
	v_add_f64_e64 v[36:37], v[46:47], -v[74:75]
	v_add_f64_e64 v[44:45], v[64:65], -v[94:95]
	v_add_f64_e32 v[18:19], v[2:3], v[8:9]
	v_add_f64_e32 v[24:25], v[54:55], v[70:71]
	;; [unrolled: 1-line block ×4, first 2 shown]
	v_add_f64_e64 v[118:119], v[40:41], -v[92:93]
	v_fma_f64 v[48:49], v[16:17], -0.5, v[48:49]
	v_add_f64_e32 v[16:17], v[169:170], v[171:172]
	v_add_f64_e64 v[169:170], v[96:97], -v[58:59]
	v_add_f64_e64 v[171:172], v[52:53], -v[116:117]
	;; [unrolled: 1-line block ×4, first 2 shown]
	v_add_f64_e32 v[104:105], v[181:182], v[183:184]
	v_add_f64_e64 v[181:182], v[58:59], -v[96:97]
	v_add_f64_e64 v[183:184], v[116:117], -v[52:53]
	v_fma_f64 v[78:79], v[78:79], -0.5, v[153:154]
	v_add_f64_e32 v[153:154], v[153:154], v[60:61]
	v_fma_f64 v[227:228], v[22:23], s[10:11], v[86:87]
	v_fma_f64 v[86:87], v[22:23], s[4:5], v[86:87]
	v_add_f64_e32 v[2:3], v[10:11], v[14:15]
	v_add_f64_e64 v[10:11], v[159:160], -v[42:43]
	v_add_f64_e32 v[8:9], v[20:21], v[34:35]
	v_add_f64_e64 v[14:15], v[66:67], -v[98:99]
	v_add_f64_e64 v[34:35], v[161:162], -v[38:39]
	v_add_f64_e32 v[173:174], v[173:174], v[203:204]
	v_add_f64_e32 v[203:204], v[195:196], v[189:190]
	;; [unrolled: 1-line block ×4, first 2 shown]
	v_add_f64_e64 v[159:160], v[159:160], -v[66:67]
	v_add_f64_e32 v[66:67], v[209:210], v[66:67]
	v_add_f64_e64 v[161:162], v[161:162], -v[56:57]
	v_add_f64_e32 v[209:210], v[46:47], v[64:65]
	v_add_f64_e64 v[42:43], v[42:43], -v[98:99]
	v_add_f64_e64 v[38:39], v[38:39], -v[167:168]
	v_add_f64_e32 v[20:21], v[36:37], v[44:45]
	v_add_f64_e64 v[36:37], v[56:57], -v[167:168]
	v_add_f64_e64 v[44:45], v[74:75], -v[46:47]
	v_add_f64_e32 v[118:119], v[118:119], v[155:156]
	v_add_f64_e32 v[153:154], v[153:154], v[62:63]
	v_fma_f64 v[86:87], v[110:111], s[12:13], v[86:87]
	v_add_f64_e32 v[10:11], v[10:11], v[14:15]
	v_add_f64_e32 v[26:27], v[173:174], v[26:27]
	v_fma_f64 v[203:204], v[203:204], -0.5, v[187:188]
	v_add_f64_e32 v[50:51], v[50:51], v[56:57]
	v_add_f64_e32 v[56:57], v[74:75], v[94:95]
	;; [unrolled: 1-line block ×4, first 2 shown]
	v_fma_f64 v[209:210], v[209:210], -0.5, v[193:194]
	v_add_f64_e32 v[14:15], v[34:35], v[36:37]
	v_add_f64_e64 v[34:35], v[94:95], -v[64:65]
	v_add_f64_e64 v[36:37], v[88:89], -v[84:85]
	v_fma_f64 v[86:87], v[6:7], s[14:15], v[86:87]
	v_add_f64_e32 v[98:99], v[50:51], v[167:168]
	v_fma_f64 v[56:57], v[56:57], -0.5, v[193:194]
	v_add_f64_e32 v[193:194], v[193:194], v[46:47]
	v_add_f64_e64 v[46:47], v[46:47], -v[64:65]
	v_add_f64_e64 v[50:51], v[102:103], -v[82:83]
	v_add_f64_e32 v[44:45], v[44:45], v[34:35]
	v_add_f64_e64 v[34:35], v[92:93], -v[40:41]
	v_add_f64_e32 v[193:194], v[193:194], v[74:75]
	v_add_f64_e64 v[74:75], v[74:75], -v[94:95]
	s_delay_alu instid0(VALU_DEP_3) | instskip(SKIP_4) | instid1(VALU_DEP_3)
	v_add_f64_e32 v[155:156], v[34:35], v[36:37]
	v_add_f64_e64 v[34:35], v[102:103], -v[163:164]
	v_add_f64_e64 v[36:37], v[82:83], -v[165:166]
	v_add_f64_e32 v[94:95], v[193:194], v[94:95]
	v_add_f64_e32 v[193:194], v[92:93], v[88:89]
	;; [unrolled: 1-line block ×3, first 2 shown]
	v_add_f64_e64 v[36:37], v[60:61], -v[62:63]
	s_delay_alu instid0(VALU_DEP_4) | instskip(NEXT) | instid1(VALU_DEP_4)
	v_add_f64_e32 v[64:65], v[94:95], v[64:65]
	v_fma_f64 v[193:194], v[193:194], -0.5, v[199:200]
	v_fma_f64 v[94:95], v[159:160], s[4:5], v[217:218]
	s_delay_alu instid0(VALU_DEP_4) | instskip(SKIP_1) | instid1(VALU_DEP_4)
	v_add_f64_e32 v[36:37], v[36:37], v[169:170]
	v_add_f64_e64 v[169:170], v[106:107], -v[157:158]
	v_fma_f64 v[167:168], v[46:47], s[10:11], v[193:194]
	s_delay_alu instid0(VALU_DEP_4) | instskip(SKIP_1) | instid1(VALU_DEP_4)
	v_fma_f64 v[94:95], v[42:43], s[16:17], v[94:95]
	v_fma_f64 v[173:174], v[46:47], s[4:5], v[193:194]
	v_add_f64_e32 v[169:170], v[169:170], v[171:172]
	v_add_f64_e64 v[171:172], v[12:13], -v[72:73]
	v_fma_f64 v[167:168], v[74:75], s[16:17], v[167:168]
	s_delay_alu instid0(VALU_DEP_2) | instskip(SKIP_2) | instid1(VALU_DEP_2)
	v_add_f64_e32 v[171:172], v[171:172], v[177:178]
	v_add_f64_e64 v[177:178], v[163:164], -v[102:103]
	v_add_f64_e64 v[102:103], v[106:107], -v[52:53]
	v_add_f64_e32 v[177:178], v[177:178], v[179:180]
	v_add_f64_e64 v[179:180], v[62:63], -v[60:61]
	v_add_f64_e64 v[62:63], v[62:63], -v[58:59]
	v_add_f64_e32 v[58:59], v[153:154], v[58:59]
	v_add_f64_e32 v[153:154], v[157:158], v[116:117]
	v_add_f64_e64 v[60:61], v[60:61], -v[96:97]
	v_add_f64_e32 v[179:180], v[179:180], v[181:182]
	v_add_f64_e64 v[181:182], v[157:158], -v[106:107]
	v_add_f64_e32 v[58:59], v[58:59], v[96:97]
	v_fma_f64 v[153:154], v[153:154], -0.5, v[100:101]
	v_fma_f64 v[96:97], v[159:160], s[10:11], v[217:218]
	s_delay_alu instid0(VALU_DEP_4) | instskip(SKIP_1) | instid1(VALU_DEP_3)
	v_add_f64_e32 v[181:182], v[181:182], v[183:184]
	v_add_f64_e64 v[183:184], v[72:73], -v[12:13]
	v_fma_f64 v[96:97], v[42:43], s[12:13], v[96:97]
	s_delay_alu instid0(VALU_DEP_2) | instskip(SKIP_1) | instid1(VALU_DEP_1)
	v_add_f64_e32 v[183:184], v[183:184], v[223:224]
	v_add_f64_e32 v[223:224], v[114:115], v[32:33]
	v_fma_f64 v[223:224], v[223:224], -0.5, v[187:188]
	v_add_f64_e32 v[187:188], v[187:188], v[114:115]
	s_delay_alu instid0(VALU_DEP_1) | instskip(SKIP_1) | instid1(VALU_DEP_2)
	v_add_f64_e32 v[187:188], v[187:188], v[195:196]
	v_add_f64_e64 v[195:196], v[195:196], -v[189:190]
	v_add_f64_e32 v[187:188], v[187:188], v[189:190]
	v_add_f64_e64 v[189:190], v[191:192], -v[207:208]
	v_add_f64_e32 v[191:192], v[197:198], v[211:212]
	v_add_f64_e32 v[207:208], v[108:109], v[28:29]
	s_delay_alu instid0(VALU_DEP_2) | instskip(NEXT) | instid1(VALU_DEP_2)
	v_fma_f64 v[191:192], v[191:192], -0.5, v[205:206]
	v_fma_f64 v[207:208], v[207:208], -0.5, v[205:206]
	v_add_f64_e32 v[205:206], v[205:206], v[108:109]
	v_add_f64_e64 v[108:109], v[108:109], -v[28:29]
	s_delay_alu instid0(VALU_DEP_2) | instskip(SKIP_1) | instid1(VALU_DEP_2)
	v_add_f64_e32 v[205:206], v[205:206], v[197:198]
	v_add_f64_e64 v[197:198], v[197:198], -v[211:212]
	v_add_f64_e32 v[205:206], v[205:206], v[211:212]
	v_add_f64_e32 v[211:212], v[40:41], v[84:85]
	s_delay_alu instid0(VALU_DEP_2) | instskip(NEXT) | instid1(VALU_DEP_2)
	v_add_f64_e32 v[28:29], v[205:206], v[28:29]
	v_fma_f64 v[211:212], v[211:212], -0.5, v[199:200]
	v_add_f64_e32 v[199:200], v[199:200], v[40:41]
	v_add_f64_e64 v[40:41], v[40:41], -v[84:85]
	s_delay_alu instid0(VALU_DEP_2) | instskip(SKIP_1) | instid1(VALU_DEP_2)
	v_add_f64_e32 v[199:200], v[199:200], v[92:93]
	v_add_f64_e64 v[92:93], v[92:93], -v[88:89]
	v_add_f64_e32 v[88:89], v[199:200], v[88:89]
	v_add_f64_e32 v[199:200], v[219:220], v[163:164]
	v_add_f64_e64 v[163:164], v[163:164], -v[165:166]
	v_add_f64_e32 v[219:220], v[12:13], v[0:1]
	v_fma_f64 v[175:176], v[92:93], s[4:5], v[209:210]
	v_add_f64_e32 v[84:85], v[88:89], v[84:85]
	v_add_f64_e32 v[165:166], v[199:200], v[165:166]
	;; [unrolled: 1-line block ×3, first 2 shown]
	v_fma_f64 v[219:220], v[219:220], -0.5, v[80:81]
	v_fma_f64 v[88:89], v[161:162], s[10:11], v[48:49]
	v_fma_f64 v[48:49], v[161:162], s[4:5], v[48:49]
	v_add_f64_e32 v[82:83], v[165:166], v[82:83]
	v_fma_f64 v[199:200], v[199:200], -0.5, v[100:101]
	v_add_f64_e32 v[100:101], v[100:101], v[106:107]
	v_fma_f64 v[106:107], v[38:39], s[10:11], v[213:214]
	v_fma_f64 v[88:89], v[38:39], s[12:13], v[88:89]
	;; [unrolled: 1-line block ×3, first 2 shown]
	s_delay_alu instid0(VALU_DEP_4) | instskip(SKIP_2) | instid1(VALU_DEP_3)
	v_add_f64_e32 v[100:101], v[100:101], v[157:158]
	v_add_f64_e64 v[157:158], v[157:158], -v[116:117]
	v_fma_f64 v[106:107], v[161:162], s[16:17], v[106:107]
	v_add_f64_e32 v[100:101], v[100:101], v[116:117]
	v_add_f64_e32 v[116:117], v[72:73], v[68:69]
	s_delay_alu instid0(VALU_DEP_3) | instskip(NEXT) | instid1(VALU_DEP_3)
	v_fma_f64 v[106:107], v[2:3], s[14:15], v[106:107]
	v_add_f64_e32 v[100:101], v[100:101], v[52:53]
	s_delay_alu instid0(VALU_DEP_3) | instskip(SKIP_3) | instid1(VALU_DEP_3)
	v_fma_f64 v[116:117], v[116:117], -0.5, v[80:81]
	v_add_f64_e32 v[80:81], v[80:81], v[12:13]
	v_fma_f64 v[52:53], v[38:39], s[4:5], v[213:214]
	v_add_f64_e64 v[12:13], v[12:13], -v[0:1]
	v_add_f64_e32 v[80:81], v[80:81], v[72:73]
	v_add_f64_e64 v[72:73], v[72:73], -v[68:69]
	s_delay_alu instid0(VALU_DEP_2)
	v_add_f64_e32 v[68:69], v[80:81], v[68:69]
	v_add_f64_e64 v[80:81], v[114:115], -v[32:33]
	v_fma_f64 v[114:115], v[195:196], s[4:5], v[207:208]
	v_fma_f64 v[207:208], v[195:196], s[10:11], v[207:208]
	v_add_f64_e32 v[32:33], v[187:188], v[32:33]
	v_fma_f64 v[187:188], v[40:41], s[4:5], v[56:57]
	v_fma_f64 v[56:57], v[40:41], s[10:11], v[56:57]
	v_add_f64_e32 v[68:69], v[68:69], v[0:1]
	v_fma_f64 v[225:226], v[80:81], s[10:11], v[191:192]
	v_fma_f64 v[191:192], v[80:81], s[4:5], v[191:192]
	v_fma_f64 v[114:115], v[80:81], s[16:17], v[114:115]
	v_fma_f64 v[80:81], v[80:81], s[12:13], v[207:208]
	v_lshlrev_b32_e32 v0, 4, v147
	s_wait_alu 0xf1ff
	v_cndmask_b32_e64 v1, 0, 0x2ee0, s0
	s_delay_alu instid0(VALU_DEP_1)
	v_add3_u32 v147, 0, v1, v0
	v_add_f64_e32 v[0:1], v[66:67], v[64:65]
	v_fma_f64 v[207:208], v[195:196], s[16:17], v[225:226]
	v_fma_f64 v[191:192], v[195:196], s[12:13], v[191:192]
	;; [unrolled: 1-line block ×60, first 2 shown]
	v_mul_f64_e32 v[205:206], s[12:13], v[161:162]
	v_mul_f64_e32 v[161:162], s[22:23], v[161:162]
	v_fma_f64 v[42:43], v[155:156], s[14:15], v[42:43]
	v_fma_f64 v[46:47], v[155:156], s[14:15], v[46:47]
	;; [unrolled: 1-line block ×9, first 2 shown]
	v_mul_f64_e32 v[195:196], s[4:5], v[114:115]
	v_fma_f64 v[70:71], v[70:71], s[14:15], v[108:109]
	v_mul_f64_e32 v[108:109], s[4:5], v[80:81]
	v_mul_f64_e32 v[80:81], s[20:21], v[80:81]
	v_fma_f64 v[50:51], v[12:13], s[12:13], v[50:51]
	v_mul_f64_e32 v[114:115], s[14:15], v[114:115]
	v_fma_f64 v[175:176], v[102:103], s[16:17], v[175:176]
	v_fma_f64 v[102:103], v[102:103], s[12:13], v[191:192]
	;; [unrolled: 1-line block ×7, first 2 shown]
	v_mul_f64_e32 v[197:198], s[12:13], v[54:55]
	v_mul_f64_e32 v[54:55], s[18:19], v[54:55]
	v_fma_f64 v[78:79], v[171:172], s[14:15], v[78:79]
	v_fma_f64 v[116:117], v[171:172], s[14:15], v[116:117]
	;; [unrolled: 1-line block ×27, first 2 shown]
	v_add_f64_e32 v[4:5], v[26:27], v[32:33]
	v_add_f64_e64 v[16:17], v[26:27], -v[32:33]
	v_fma_f64 v[32:33], v[44:45], s[14:15], v[165:166]
	v_mul_f64_e32 v[199:200], s[4:5], v[42:43]
	v_mul_f64_e32 v[201:202], s[14:15], v[42:43]
	v_fma_f64 v[118:119], v[6:7], s[14:15], v[189:190]
	v_fma_f64 v[165:166], v[44:45], s[14:15], v[40:41]
	v_mul_f64_e32 v[203:204], s[4:5], v[46:47]
	v_mul_f64_e32 v[205:206], s[20:21], v[46:47]
	v_fma_f64 v[189:190], v[20:21], s[14:15], v[48:49]
	v_mul_f64_e32 v[211:212], s[12:13], v[78:79]
	v_mul_f64_e32 v[78:79], s[22:23], v[78:79]
	v_add_f64_e32 v[6:7], v[30:31], v[28:29]
	v_add_f64_e64 v[18:19], v[30:31], -v[28:29]
	v_mul_f64_e32 v[215:216], s[4:5], v[102:103]
	v_fma_f64 v[191:192], v[169:170], s[14:15], v[191:192]
	v_mul_f64_e32 v[102:103], s[20:21], v[102:103]
	v_fma_f64 v[153:154], v[34:35], s[14:15], v[153:154]
	v_mul_f64_e32 v[181:182], s[12:13], v[56:57]
	v_mul_f64_e32 v[197:198], s[22:23], v[56:57]
	;; [unrolled: 1-line block ×4, first 2 shown]
	v_add_f64_e32 v[42:43], v[92:93], v[108:109]
	v_mul_f64_e32 v[213:214], s[4:5], v[112:113]
	v_mul_f64_e32 v[112:113], s[14:15], v[112:113]
	v_add_f64_e32 v[44:45], v[175:176], v[70:71]
	v_add_f64_e32 v[28:29], v[74:75], v[183:184]
	v_add_f64_e64 v[38:39], v[74:75], -v[183:184]
	v_add_f64_e64 v[48:49], v[175:176], -v[70:71]
	v_fma_f64 v[70:71], v[169:170], s[14:15], v[72:73]
	v_mul_f64_e32 v[72:73], s[12:13], v[116:117]
	v_mul_f64_e32 v[74:75], s[18:19], v[116:117]
	v_add_f64_e64 v[46:47], v[92:93], -v[108:109]
	v_add_f64_e32 v[50:51], v[157:158], v[80:81]
	v_add_f64_e32 v[52:53], v[86:87], v[185:186]
	v_add_f64_e64 v[54:55], v[157:158], -v[80:81]
	v_add_f64_e64 v[56:57], v[86:87], -v[185:186]
	v_fma_f64 v[80:81], v[10:11], s[14:15], v[88:89]
	v_fma_f64 v[86:87], v[10:11], s[14:15], v[110:111]
	;; [unrolled: 1-line block ×5, first 2 shown]
	v_add_f64_e32 v[20:21], v[90:91], v[155:156]
	v_add_f64_e64 v[24:25], v[90:91], -v[155:156]
	v_add_f64_e32 v[30:31], v[163:164], v[114:115]
	v_add_f64_e64 v[40:41], v[163:164], -v[114:115]
	v_fma_f64 v[90:91], v[14:15], s[14:15], v[96:97]
	v_fma_f64 v[96:97], v[32:33], s[14:15], v[199:200]
	;; [unrolled: 1-line block ×3, first 2 shown]
	v_add_f64_e32 v[22:23], v[118:119], v[161:162]
	v_add_f64_e64 v[26:27], v[118:119], -v[161:162]
	v_fma_f64 v[116:117], v[165:166], s[20:21], v[203:204]
	v_fma_f64 v[118:119], v[165:166], s[10:11], v[205:206]
	;; [unrolled: 1-line block ×20, first 2 shown]
	v_add_f64_e32 v[2:3], v[98:99], v[84:85]
	v_add_f64_e32 v[14:15], v[58:59], v[68:69]
	v_add_f64_e64 v[34:35], v[58:59], -v[68:69]
	v_add_f64_e64 v[8:9], v[66:67], -v[64:65]
	;; [unrolled: 1-line block ×3, first 2 shown]
	v_add_f64_e32 v[12:13], v[82:83], v[100:101]
	v_add_f64_e64 v[32:33], v[82:83], -v[100:101]
	ds_store_b128 v147, v[4:7]
	ds_store_b128 v147, v[20:23] offset:1200
	v_add_f64_e32 v[66:67], v[80:81], v[96:97]
	v_add_f64_e32 v[68:69], v[88:89], v[114:115]
	;; [unrolled: 1-line block ×4, first 2 shown]
	v_add_f64_e64 v[70:71], v[80:81], -v[96:97]
	v_add_f64_e64 v[72:73], v[88:89], -v[114:115]
	;; [unrolled: 1-line block ×3, first 2 shown]
	v_add_f64_e32 v[58:59], v[108:109], v[92:93]
	v_add_f64_e32 v[60:61], v[110:111], v[94:95]
	;; [unrolled: 1-line block ×4, first 2 shown]
	v_add_f64_e64 v[62:63], v[108:109], -v[92:93]
	v_add_f64_e64 v[64:65], v[110:111], -v[94:95]
	;; [unrolled: 1-line block ×4, first 2 shown]
	v_add_f64_e32 v[98:99], v[112:113], v[167:168]
	v_add_f64_e32 v[100:101], v[104:105], v[169:170]
	v_add_f64_e64 v[86:87], v[106:107], -v[157:158]
	v_add_f64_e64 v[102:103], v[112:113], -v[167:168]
	v_add_f64_e32 v[106:107], v[171:172], v[173:174]
	v_add_f64_e32 v[108:109], v[151:152], v[175:176]
	v_add_f64_e64 v[104:105], v[104:105], -v[169:170]
	v_add_f64_e64 v[80:81], v[90:91], -v[118:119]
	;; [unrolled: 4-line block ×3, first 2 shown]
	v_add_f64_e64 v[88:89], v[155:156], -v[159:160]
	v_add_f64_e32 v[90:91], v[153:154], v[161:162]
	v_add_f64_e64 v[151:152], v[177:178], -v[179:180]
	v_add_f64_e64 v[153:154], v[36:37], -v[181:182]
	v_add_f64_e32 v[92:93], v[165:166], v[163:164]
	v_and_b32_e32 v118, 0xffff, v148
	v_lshlrev_b32_e32 v5, 4, v134
	ds_store_b128 v147, v[28:31] offset:2400
	ds_store_b128 v147, v[42:45] offset:3600
	;; [unrolled: 1-line block ×6, first 2 shown]
	v_lshlrev_b32_e32 v134, 2, v120
	v_mul_u32_u24_e32 v4, 0x2ee0, v118
	s_delay_alu instid0(VALU_DEP_1)
	v_add3_u32 v4, 0, v4, v5
	v_and_b32_e32 v5, 0xffff, v150
	ds_store_b128 v147, v[46:49] offset:9600
	ds_store_b128 v147, v[54:57] offset:10800
	ds_store_b128 v4, v[0:3]
	ds_store_b128 v4, v[58:61] offset:1200
	v_lshlrev_b32_e32 v1, 4, v149
	ds_store_b128 v4, v[66:69] offset:2400
	ds_store_b128 v4, v[74:77] offset:3600
	;; [unrolled: 1-line block ×4, first 2 shown]
	v_mul_u32_u24_e32 v0, 0x2ee0, v5
	s_delay_alu instid0(VALU_DEP_1)
	v_add3_u32 v2, 0, v0, v1
	v_lshlrev_b64_e32 v[0:1], 4, v[134:135]
	ds_store_b128 v4, v[62:65] offset:7200
	ds_store_b128 v4, v[70:73] offset:8400
	ds_store_b128 v4, v[78:81] offset:9600
	ds_store_b128 v4, v[86:89] offset:10800
	ds_store_b128 v2, v[12:15]
	ds_store_b128 v2, v[90:93] offset:1200
	v_add_co_u32 v8, s0, s8, v0
	s_wait_alu 0xf1ff
	v_add_co_ci_u32_e64 v9, s0, s9, v1, s0
	ds_store_b128 v2, v[98:101] offset:2400
	ds_store_b128 v2, v[106:109] offset:3600
	;; [unrolled: 1-line block ×8, first 2 shown]
	global_wb scope:SCOPE_SE
	s_wait_dscnt 0x0
	s_barrier_signal -1
	s_barrier_wait -1
	global_inv scope:SCOPE_SE
	s_clause 0x1
	global_load_b128 v[4:7], v[8:9], off offset:11952
	global_load_b128 v[0:3], v[8:9], off offset:11968
	v_lshlrev_b32_e32 v134, 2, v122
	s_clause 0x1
	global_load_b128 v[12:15], v[8:9], off offset:11984
	global_load_b128 v[8:11], v[8:9], off offset:12000
	v_lshlrev_b64_e32 v[16:17], 4, v[134:135]
	v_lshlrev_b32_e32 v134, 2, v133
	s_delay_alu instid0(VALU_DEP_2) | instskip(SKIP_1) | instid1(VALU_DEP_3)
	v_add_co_u32 v20, s0, s8, v16
	s_wait_alu 0xf1ff
	v_add_co_ci_u32_e64 v21, s0, s9, v17, s0
	s_delay_alu instid0(VALU_DEP_3)
	v_lshlrev_b64_e32 v[32:33], 4, v[134:135]
	v_lshlrev_b32_e32 v134, 2, v132
	s_clause 0x3
	global_load_b128 v[16:19], v[20:21], off offset:11952
	global_load_b128 v[28:31], v[20:21], off offset:11968
	;; [unrolled: 1-line block ×4, first 2 shown]
	v_add_co_u32 v40, s0, s8, v32
	s_wait_alu 0xf1ff
	v_add_co_ci_u32_e64 v41, s0, s9, v33, s0
	s_clause 0x3
	global_load_b128 v[32:35], v[40:41], off offset:11952
	global_load_b128 v[36:39], v[40:41], off offset:11968
	;; [unrolled: 1-line block ×4, first 2 shown]
	v_lshlrev_b64_e32 v[48:49], 4, v[134:135]
	v_lshlrev_b32_e32 v134, 2, v131
	s_delay_alu instid0(VALU_DEP_2) | instskip(SKIP_1) | instid1(VALU_DEP_3)
	v_add_co_u32 v56, s0, s8, v48
	s_wait_alu 0xf1ff
	v_add_co_ci_u32_e64 v57, s0, s9, v49, s0
	s_clause 0x1
	global_load_b128 v[48:51], v[56:57], off offset:11952
	global_load_b128 v[52:55], v[56:57], off offset:11968
	v_lshlrev_b64_e32 v[64:65], 4, v[134:135]
	s_clause 0x1
	global_load_b128 v[60:63], v[56:57], off offset:11984
	global_load_b128 v[56:59], v[56:57], off offset:12000
	v_lshlrev_b32_e32 v134, 2, v130
	v_add_co_u32 v64, s0, s8, v64
	s_wait_alu 0xf1ff
	v_add_co_ci_u32_e64 v65, s0, s9, v65, s0
	s_clause 0x2
	global_load_b128 v[76:79], v[64:65], off offset:11952
	global_load_b128 v[72:75], v[64:65], off offset:11968
	;; [unrolled: 1-line block ×3, first 2 shown]
	v_lshlrev_b64_e32 v[66:67], 4, v[134:135]
	s_delay_alu instid0(VALU_DEP_1) | instskip(SKIP_1) | instid1(VALU_DEP_2)
	v_add_co_u32 v84, s0, s8, v66
	s_wait_alu 0xf1ff
	v_add_co_ci_u32_e64 v85, s0, s9, v67, s0
	s_clause 0x4
	global_load_b128 v[64:67], v[64:65], off offset:12000
	global_load_b128 v[80:83], v[84:85], off offset:11952
	;; [unrolled: 1-line block ×5, first 2 shown]
	ds_load_b128 v[108:111], v145
	ds_load_b128 v[104:107], v136 offset:24000
	ds_load_b128 v[100:103], v136 offset:36000
	;; [unrolled: 1-line block ×3, first 2 shown]
	ds_load_b128 v[112:115], v144
	ds_load_b128 v[116:119], v136 offset:22000
	ds_load_b128 v[147:150], v136 offset:14000
	;; [unrolled: 1-line block ×10, first 2 shown]
	s_wait_loadcnt_dscnt 0x170e
	v_mul_f64_e32 v[183:184], v[110:111], v[6:7]
	s_wait_loadcnt_dscnt 0x160d
	v_mul_f64_e32 v[185:186], v[106:107], v[2:3]
	v_mul_f64_e32 v[187:188], v[104:105], v[2:3]
	;; [unrolled: 1-line block ×3, first 2 shown]
	s_wait_loadcnt_dscnt 0x150c
	v_mul_f64_e32 v[189:190], v[102:103], v[14:15]
	v_mul_f64_e32 v[14:15], v[100:101], v[14:15]
	s_wait_loadcnt_dscnt 0x140b
	v_mul_f64_e32 v[191:192], v[98:99], v[10:11]
	v_mul_f64_e32 v[193:194], v[96:97], v[10:11]
	;; [unrolled: 3-line block ×4, first 2 shown]
	s_wait_loadcnt_dscnt 0x1106
	v_mul_f64_e32 v[199:200], v[157:158], v[26:27]
	s_wait_loadcnt_dscnt 0x1004
	v_mul_f64_e32 v[201:202], v[165:166], v[22:23]
	s_wait_loadcnt_dscnt 0xe01
	v_mul_f64_e32 v[203:204], v[177:178], v[38:39]
	v_mul_f64_e32 v[38:39], v[175:176], v[38:39]
	v_fma_f64 v[108:109], v[108:109], v[4:5], v[183:184]
	v_mul_f64_e32 v[183:184], v[155:156], v[26:27]
	v_fma_f64 v[104:105], v[104:105], v[0:1], v[185:186]
	v_fma_f64 v[106:107], v[106:107], v[0:1], -v[187:188]
	v_mul_f64_e32 v[0:1], v[163:164], v[22:23]
	v_fma_f64 v[110:111], v[110:111], v[4:5], -v[6:7]
	ds_load_b128 v[2:5], v136 offset:52000
	v_fma_f64 v[187:188], v[100:101], v[12:13], v[189:190]
	v_fma_f64 v[189:190], v[102:103], v[12:13], -v[14:15]
	ds_load_b128 v[10:13], v136 offset:18000
	ds_load_b128 v[100:103], v136 offset:30000
	v_mul_f64_e32 v[185:186], v[173:174], v[34:35]
	v_mul_f64_e32 v[34:35], v[171:172], v[34:35]
	v_fma_f64 v[96:97], v[96:97], v[8:9], v[191:192]
	s_wait_loadcnt_dscnt 0xd03
	v_mul_f64_e32 v[191:192], v[181:182], v[46:47]
	v_mul_f64_e32 v[46:47], v[179:180], v[46:47]
	v_fma_f64 v[98:99], v[98:99], v[8:9], -v[193:194]
	v_fma_f64 v[147:148], v[147:148], v[16:17], v[195:196]
	v_fma_f64 v[149:150], v[149:150], v[16:17], -v[18:19]
	ds_load_b128 v[6:9], v136 offset:42000
	ds_load_b128 v[14:17], v136 offset:54000
	v_fma_f64 v[151:152], v[151:152], v[28:29], v[197:198]
	v_fma_f64 v[153:154], v[153:154], v[28:29], -v[30:31]
	ds_load_b128 v[26:29], v136 offset:20000
	s_wait_loadcnt_dscnt 0xc05
	v_mul_f64_e32 v[193:194], v[4:5], v[42:43]
	v_fma_f64 v[155:156], v[155:156], v[24:25], v[199:200]
	s_wait_loadcnt_dscnt 0xb04
	v_mul_f64_e32 v[195:196], v[12:13], v[50:51]
	v_mul_f64_e32 v[50:51], v[10:11], v[50:51]
	v_fma_f64 v[163:164], v[163:164], v[20:21], v[201:202]
	v_mul_f64_e32 v[42:43], v[2:3], v[42:43]
	v_fma_f64 v[175:176], v[175:176], v[36:37], v[203:204]
	v_fma_f64 v[36:37], v[177:178], v[36:37], -v[38:39]
	v_fma_f64 v[157:158], v[157:158], v[24:25], -v[183:184]
	ds_load_b128 v[22:25], v136 offset:32000
	s_wait_loadcnt_dscnt 0xa04
	v_mul_f64_e32 v[183:184], v[102:103], v[54:55]
	v_fma_f64 v[165:166], v[165:166], v[20:21], -v[0:1]
	ds_load_b128 v[18:21], v136 offset:44000
	v_mul_f64_e32 v[54:55], v[100:101], v[54:55]
	s_wait_loadcnt_dscnt 0x803
	v_mul_f64_e32 v[38:39], v[14:15], v[58:59]
	v_fma_f64 v[171:172], v[171:172], v[32:33], v[185:186]
	v_fma_f64 v[34:35], v[173:174], v[32:33], -v[34:35]
	ds_load_b128 v[30:33], v136 offset:56000
	v_mul_f64_e32 v[173:174], v[8:9], v[62:63]
	v_mul_f64_e32 v[62:63], v[6:7], v[62:63]
	;; [unrolled: 1-line block ×3, first 2 shown]
	s_wait_loadcnt_dscnt 0x703
	v_mul_f64_e32 v[58:59], v[28:29], v[78:79]
	v_mul_f64_e32 v[78:79], v[26:27], v[78:79]
	v_fma_f64 v[179:180], v[179:180], v[44:45], v[191:192]
	v_fma_f64 v[44:45], v[181:182], v[44:45], -v[46:47]
	s_wait_loadcnt_dscnt 0x602
	v_mul_f64_e32 v[177:178], v[24:25], v[74:75]
	v_mul_f64_e32 v[46:47], v[22:23], v[74:75]
	s_wait_loadcnt_dscnt 0x501
	v_mul_f64_e32 v[74:75], v[20:21], v[70:71]
	v_fma_f64 v[191:192], v[2:3], v[40:41], v[193:194]
	ds_load_b128 v[0:3], v136 offset:58000
	v_fma_f64 v[193:194], v[10:11], v[48:49], v[195:196]
	v_fma_f64 v[48:49], v[12:13], v[48:49], -v[50:51]
	ds_load_b128 v[10:13], v136
	v_mul_f64_e32 v[70:71], v[18:19], v[70:71]
	s_wait_loadcnt_dscnt 0x402
	v_mul_f64_e32 v[181:182], v[32:33], v[66:67]
	v_fma_f64 v[40:41], v[4:5], v[40:41], -v[42:43]
	v_mul_f64_e32 v[42:43], v[30:31], v[66:67]
	s_wait_loadcnt 0x3
	v_mul_f64_e32 v[66:67], v[118:119], v[82:83]
	v_mul_f64_e32 v[50:51], v[116:117], v[82:83]
	v_add_f64_e64 v[209:210], v[163:164], -v[155:156]
	v_fma_f64 v[82:83], v[100:101], v[52:53], v[183:184]
	v_add_f64_e32 v[100:101], v[104:105], v[187:188]
	s_wait_loadcnt 0x1
	v_mul_f64_e32 v[183:184], v[169:170], v[90:91]
	v_fma_f64 v[52:53], v[102:103], v[52:53], -v[54:55]
	v_mul_f64_e32 v[54:55], v[161:162], v[94:95]
	v_mul_f64_e32 v[94:95], v[159:160], v[94:95]
	v_add_f64_e32 v[102:103], v[106:107], v[189:190]
	v_fma_f64 v[38:39], v[16:17], v[56:57], -v[38:39]
	v_add_f64_e64 v[223:224], v[34:35], -v[36:37]
	v_fma_f64 v[173:174], v[6:7], v[60:61], v[173:174]
	v_fma_f64 v[60:61], v[8:9], v[60:61], -v[62:63]
	v_mul_f64_e32 v[8:9], v[167:168], v[90:91]
	s_wait_loadcnt_dscnt 0x1
	v_mul_f64_e32 v[62:63], v[2:3], v[86:87]
	v_fma_f64 v[90:91], v[14:15], v[56:57], v[185:186]
	v_mul_f64_e32 v[56:57], v[0:1], v[86:87]
	s_wait_dscnt 0x0
	v_add_f64_e32 v[86:87], v[10:11], v[108:109]
	v_fma_f64 v[58:59], v[26:27], v[76:77], v[58:59]
	v_add_f64_e32 v[185:186], v[12:13], v[110:111]
	v_fma_f64 v[76:77], v[28:29], v[76:77], -v[78:79]
	v_fma_f64 v[78:79], v[22:23], v[72:73], v[177:178]
	v_fma_f64 v[46:47], v[24:25], v[72:73], -v[46:47]
	v_fma_f64 v[72:73], v[18:19], v[68:69], v[74:75]
	v_add_f64_e32 v[18:19], v[108:109], v[96:97]
	ds_load_b128 v[4:7], v142
	ds_load_b128 v[14:17], v140
	ds_load_b128 v[22:25], v141
	ds_load_b128 v[26:29], v139
	v_add_f64_e64 v[74:75], v[108:109], -v[96:97]
	v_fma_f64 v[68:69], v[20:21], v[68:69], -v[70:71]
	v_add_f64_e32 v[20:21], v[110:111], v[98:99]
	v_fma_f64 v[177:178], v[30:31], v[64:65], v[181:182]
	v_fma_f64 v[181:182], v[32:33], v[64:65], -v[42:43]
	v_fma_f64 v[64:65], v[116:117], v[80:81], v[66:67]
	v_add_f64_e64 v[42:43], v[110:111], -v[98:99]
	v_fma_f64 v[50:51], v[118:119], v[80:81], -v[50:51]
	v_add_f64_e32 v[118:119], v[147:148], v[163:164]
	v_add_f64_e32 v[195:196], v[175:176], v[179:180]
	v_add_f64_e32 v[197:198], v[36:37], v[44:45]
	v_add_f64_e32 v[199:200], v[171:172], v[191:192]
	v_fma_f64 v[66:67], v[100:101], -0.5, v[10:11]
	v_add_f64_e32 v[116:117], v[153:154], v[157:158]
	v_add_f64_e32 v[201:202], v[34:35], v[40:41]
	v_fma_f64 v[54:55], v[159:160], v[92:93], v[54:55]
	v_fma_f64 v[70:71], v[161:162], v[92:93], -v[94:95]
	v_add_f64_e32 v[94:95], v[151:152], v[155:156]
	v_fma_f64 v[100:101], v[102:103], -0.5, v[12:13]
	v_fma_f64 v[102:103], v[167:168], v[88:89], v[183:184]
	v_add_f64_e64 v[161:162], v[96:97], -v[187:188]
	v_add_f64_e64 v[183:184], v[106:107], -v[189:190]
	s_wait_dscnt 0x3
	v_add_f64_e32 v[30:31], v[4:5], v[147:148]
	v_fma_f64 v[88:89], v[169:170], v[88:89], -v[8:9]
	v_add_f64_e64 v[8:9], v[108:109], -v[104:105]
	v_fma_f64 v[167:168], v[0:1], v[84:85], v[62:63]
	s_wait_dscnt 0x1
	v_add_f64_e32 v[0:1], v[22:23], v[193:194]
	v_add_f64_e32 v[62:63], v[24:25], v[48:49]
	;; [unrolled: 1-line block ×3, first 2 shown]
	v_fma_f64 v[169:170], v[2:3], v[84:85], -v[56:57]
	v_add_f64_e32 v[2:3], v[185:186], v[106:107]
	v_add_f64_e32 v[32:33], v[6:7], v[149:150]
	;; [unrolled: 1-line block ×4, first 2 shown]
	v_fma_f64 v[10:11], v[18:19], -0.5, v[10:11]
	v_add_f64_e32 v[159:160], v[149:150], v[165:166]
	v_add_f64_e64 v[56:57], v[110:111], -v[106:107]
	v_add_f64_e64 v[84:85], v[98:99], -v[189:190]
	;; [unrolled: 1-line block ×4, first 2 shown]
	v_fma_f64 v[12:13], v[20:21], -0.5, v[12:13]
	v_add_f64_e64 v[20:21], v[106:107], -v[110:111]
	v_add_f64_e64 v[104:105], v[187:188], -v[96:97]
	;; [unrolled: 1-line block ×3, first 2 shown]
	v_add_f64_e32 v[203:204], v[82:83], v[173:174]
	v_add_f64_e32 v[205:206], v[52:53], v[60:61]
	v_fma_f64 v[118:119], v[118:119], -0.5, v[4:5]
	v_add_f64_e32 v[217:218], v[76:77], v[181:182]
	v_add_f64_e64 v[110:111], v[147:148], -v[151:152]
	v_add_f64_e64 v[213:214], v[191:192], -v[179:180]
	v_fma_f64 v[108:109], v[42:43], s[4:5], v[66:67]
	v_fma_f64 v[66:67], v[42:43], s[10:11], v[66:67]
	v_fma_f64 v[116:117], v[116:117], -0.5, v[6:7]
	v_add_f64_e64 v[215:216], v[171:172], -v[191:192]
	v_add_f64_e64 v[225:226], v[34:35], -v[40:41]
	v_fma_f64 v[94:95], v[94:95], -0.5, v[4:5]
	v_fma_f64 v[207:208], v[74:75], s[10:11], v[100:101]
	v_add_f64_e32 v[4:5], v[193:194], v[90:91]
	v_fma_f64 v[100:101], v[74:75], s[4:5], v[100:101]
	v_add_f64_e64 v[34:35], v[36:37], -v[34:35]
	v_add_f64_e32 v[30:31], v[30:31], v[151:152]
	global_wb scope:SCOPE_SE
	s_wait_dscnt 0x0
	v_add_f64_e32 v[161:162], v[8:9], v[161:162]
	s_barrier_signal -1
	v_add_f64_e32 v[0:1], v[0:1], v[82:83]
	v_add_f64_e32 v[8:9], v[62:63], v[52:53]
	;; [unrolled: 1-line block ×3, first 2 shown]
	v_add_f64_e64 v[86:87], v[149:150], -v[153:154]
	v_add_f64_e32 v[2:3], v[2:3], v[189:190]
	v_fma_f64 v[189:190], v[195:196], -0.5, v[14:15]
	v_fma_f64 v[195:196], v[197:198], -0.5, v[16:17]
	;; [unrolled: 1-line block ×3, first 2 shown]
	v_fma_f64 v[14:15], v[183:184], s[10:11], v[10:11]
	v_fma_f64 v[10:11], v[183:184], s[4:5], v[10:11]
	v_add_f64_e32 v[32:33], v[32:33], v[153:154]
	v_add_f64_e32 v[80:81], v[80:81], v[175:176]
	;; [unrolled: 1-line block ×3, first 2 shown]
	v_fma_f64 v[159:160], v[159:160], -0.5, v[6:7]
	v_add_f64_e32 v[6:7], v[48:49], v[38:39]
	v_fma_f64 v[199:200], v[201:202], -0.5, v[16:17]
	v_fma_f64 v[16:17], v[185:186], s[4:5], v[12:13]
	v_fma_f64 v[12:13], v[185:186], s[10:11], v[12:13]
	v_fma_f64 v[203:204], v[203:204], -0.5, v[22:23]
	v_add_f64_e32 v[56:57], v[56:57], v[84:85]
	v_fma_f64 v[205:206], v[205:206], -0.5, v[24:25]
	v_add_f64_e32 v[106:107], v[20:21], v[106:107]
	v_add_f64_e64 v[187:188], v[165:166], -v[157:158]
	v_add_f64_e64 v[84:85], v[147:148], -v[163:164]
	v_fma_f64 v[108:109], v[183:184], s[12:13], v[108:109]
	v_fma_f64 v[66:67], v[183:184], s[16:17], v[66:67]
	v_add_f64_e64 v[147:148], v[151:152], -v[147:148]
	v_add_f64_e64 v[151:152], v[151:152], -v[155:156]
	;; [unrolled: 1-line block ×4, first 2 shown]
	v_fma_f64 v[201:202], v[185:186], s[16:17], v[207:208]
	v_fma_f64 v[207:208], v[4:5], -0.5, v[22:23]
	v_fma_f64 v[100:101], v[185:186], s[12:13], v[100:101]
	v_add_f64_e64 v[153:154], v[153:154], -v[157:158]
	v_add_f64_e32 v[30:31], v[30:31], v[155:156]
	v_add_f64_e64 v[155:156], v[155:156], -v[163:164]
	v_add_f64_e64 v[185:186], v[171:172], -v[175:176]
	;; [unrolled: 1-line block ×3, first 2 shown]
	v_add_f64_e32 v[22:23], v[0:1], v[173:174]
	v_add_f64_e64 v[175:176], v[175:176], -v[179:180]
	v_add_f64_e32 v[0:1], v[62:63], v[96:97]
	v_add_f64_e32 v[96:97], v[46:47], v[68:69]
	;; [unrolled: 1-line block ×6, first 2 shown]
	v_fma_f64 v[219:220], v[42:43], s[12:13], v[14:15]
	v_fma_f64 v[42:43], v[42:43], s[16:17], v[10:11]
	v_add_f64_e32 v[32:33], v[32:33], v[157:158]
	v_add_f64_e32 v[80:81], v[80:81], v[179:180]
	;; [unrolled: 1-line block ×3, first 2 shown]
	v_add_f64_e64 v[157:158], v[157:158], -v[165:166]
	v_fma_f64 v[211:212], v[6:7], -0.5, v[24:25]
	v_add_f64_e32 v[24:25], v[8:9], v[60:61]
	v_fma_f64 v[221:222], v[74:75], s[16:17], v[16:17]
	v_fma_f64 v[74:75], v[74:75], s[12:13], v[12:13]
	v_add_f64_e64 v[179:180], v[179:180], -v[191:192]
	v_add_f64_e64 v[36:37], v[36:37], -v[44:45]
	s_barrier_wait -1
	global_inv scope:SCOPE_SE
	v_add_f64_e32 v[86:87], v[86:87], v[187:188]
	v_fma_f64 v[12:13], v[161:162], s[14:15], v[108:109]
	v_fma_f64 v[16:17], v[161:162], s[14:15], v[66:67]
	v_fma_f64 v[108:109], v[217:218], -0.5, v[28:29]
	v_add_f64_e32 v[161:162], v[28:29], v[76:77]
	v_add_f64_e64 v[66:67], v[193:194], -v[90:91]
	v_fma_f64 v[14:15], v[56:57], s[14:15], v[201:202]
	v_fma_f64 v[18:19], v[56:57], s[14:15], v[100:101]
	v_add_f64_e64 v[56:57], v[38:39], -v[60:61]
	v_add_f64_e32 v[4:5], v[30:31], v[163:164]
	v_add_f64_e64 v[100:101], v[173:174], -v[90:91]
	v_add_f64_e64 v[163:164], v[193:194], -v[82:83]
	v_add_f64_e32 v[147:148], v[147:148], v[155:156]
	v_add_f64_e32 v[20:21], v[22:23], v[90:91]
	v_add_f64_e64 v[155:156], v[177:178], -v[72:73]
	v_fma_f64 v[96:97], v[96:97], -0.5, v[28:29]
	v_fma_f64 v[62:63], v[62:63], -0.5, v[26:27]
	;; [unrolled: 1-line block ×3, first 2 shown]
	v_fma_f64 v[28:29], v[98:99], s[14:15], v[42:43]
	v_add_f64_e32 v[42:43], v[50:51], v[169:170]
	v_add_f64_e32 v[6:7], v[32:33], v[165:166]
	v_add_f64_e64 v[32:33], v[40:41], -v[44:45]
	v_add_f64_e64 v[44:45], v[44:45], -v[40:41]
	v_add_f64_e32 v[8:9], v[80:81], v[191:192]
	v_add_f64_e32 v[10:11], v[92:93], v[40:41]
	v_add_f64_e64 v[40:41], v[90:91], -v[173:174]
	v_add_f64_e64 v[80:81], v[48:49], -v[52:53]
	v_add_f64_e32 v[22:23], v[24:25], v[38:39]
	v_add_f64_e64 v[90:91], v[48:49], -v[38:39]
	v_add_f64_e64 v[48:49], v[52:53], -v[48:49]
	;; [unrolled: 1-line block ×4, first 2 shown]
	v_add_f64_e32 v[60:61], v[26:27], v[58:59]
	v_fma_f64 v[26:27], v[106:107], s[14:15], v[221:222]
	v_add_f64_e32 v[165:166], v[64:65], v[167:168]
	v_fma_f64 v[30:31], v[106:107], s[14:15], v[74:75]
	v_add_f64_e64 v[92:93], v[82:83], -v[193:194]
	v_fma_f64 v[24:25], v[98:99], s[14:15], v[219:220]
	v_add_f64_e32 v[171:172], v[171:172], v[179:180]
	v_add_f64_e64 v[179:180], v[72:73], -v[177:178]
	v_add_f64_e64 v[82:83], v[82:83], -v[173:174]
	v_add_f64_e32 v[149:150], v[149:150], v[157:158]
	v_add_f64_e64 v[157:158], v[76:77], -v[46:47]
	v_add_f64_e32 v[173:174], v[185:186], v[213:214]
	;; [unrolled: 2-line block ×3, first 2 shown]
	v_fma_f64 v[106:107], v[42:43], -0.5, v[114:115]
	v_add_f64_e32 v[42:43], v[70:71], v[88:89]
	v_add_f64_e32 v[187:188], v[223:224], v[32:33]
	v_add_f64_e64 v[32:33], v[78:79], -v[58:59]
	v_add_f64_e32 v[191:192], v[34:35], v[44:45]
	v_add_f64_e64 v[34:35], v[46:47], -v[76:77]
	v_add_f64_e32 v[163:164], v[163:164], v[40:41]
	v_add_f64_e64 v[40:41], v[68:69], -v[181:182]
	v_add_f64_e32 v[80:81], v[80:81], v[56:57]
	v_add_f64_e64 v[44:45], v[54:55], -v[64:65]
	v_add_f64_e64 v[56:57], v[102:103], -v[167:168]
	v_add_f64_e64 v[76:77], v[76:77], -v[181:182]
	v_fma_f64 v[201:202], v[52:53], s[4:5], v[207:208]
	v_add_f64_e32 v[60:61], v[60:61], v[78:79]
	v_fma_f64 v[98:99], v[165:166], -0.5, v[112:113]
	v_add_f64_e32 v[92:93], v[92:93], v[100:101]
	v_add_f64_e32 v[100:101], v[161:162], v[46:47]
	;; [unrolled: 1-line block ×3, first 2 shown]
	v_fma_f64 v[38:39], v[183:184], s[4:5], v[94:95]
	v_fma_f64 v[48:49], v[183:184], s[10:11], v[94:95]
	v_add_f64_e64 v[46:47], v[46:47], -v[68:69]
	v_fma_f64 v[74:75], v[74:75], -0.5, v[112:113]
	v_add_f64_e32 v[112:113], v[112:113], v[64:65]
	v_fma_f64 v[165:166], v[42:43], -0.5, v[114:115]
	v_add_f64_e32 v[42:43], v[110:111], v[209:210]
	v_add_f64_e64 v[110:111], v[58:59], -v[78:79]
	v_add_f64_e32 v[179:180], v[32:33], v[179:180]
	v_fma_f64 v[32:33], v[151:152], s[4:5], v[159:160]
	v_fma_f64 v[159:160], v[151:152], s[10:11], v[159:160]
	v_add_f64_e64 v[58:59], v[58:59], -v[177:178]
	v_add_f64_e64 v[78:79], v[78:79], -v[72:73]
	v_add_f64_e32 v[114:115], v[114:115], v[50:51]
	v_add_f64_e64 v[209:210], v[70:71], -v[88:89]
	v_add_f64_e32 v[193:194], v[60:61], v[72:73]
	v_fma_f64 v[60:61], v[36:37], s[10:11], v[197:198]
	v_fma_f64 v[72:73], v[36:37], s[4:5], v[197:198]
	;; [unrolled: 1-line block ×3, first 2 shown]
	v_add_f64_e32 v[100:101], v[100:101], v[68:69]
	v_fma_f64 v[68:69], v[175:176], s[4:5], v[199:200]
	v_fma_f64 v[38:39], v[153:154], s[12:13], v[38:39]
	;; [unrolled: 1-line block ×3, first 2 shown]
	v_add_f64_e32 v[94:95], v[110:111], v[155:156]
	v_fma_f64 v[110:111], v[84:85], s[10:11], v[116:117]
	v_fma_f64 v[116:117], v[84:85], s[4:5], v[116:117]
	v_add_f64_e32 v[155:156], v[157:158], v[185:186]
	v_fma_f64 v[157:158], v[153:154], s[10:11], v[118:119]
	v_fma_f64 v[118:119], v[153:154], s[4:5], v[118:119]
	;; [unrolled: 3-line block ×4, first 2 shown]
	v_fma_f64 v[195:196], v[175:176], s[10:11], v[199:200]
	v_fma_f64 v[153:154], v[90:91], s[4:5], v[203:204]
	v_fma_f64 v[199:200], v[66:67], s[4:5], v[205:206]
	v_fma_f64 v[203:204], v[84:85], s[16:17], v[32:33]
	v_fma_f64 v[84:85], v[84:85], s[12:13], v[159:160]
	v_fma_f64 v[32:33], v[82:83], s[4:5], v[211:212]
	v_fma_f64 v[159:160], v[82:83], s[10:11], v[211:212]
	v_fma_f64 v[68:69], v[215:216], s[16:17], v[68:69]
	v_fma_f64 v[60:61], v[225:226], s[12:13], v[60:61]
	v_fma_f64 v[110:111], v[151:152], s[16:17], v[110:111]
	v_fma_f64 v[116:117], v[151:152], s[12:13], v[116:117]
	v_fma_f64 v[151:152], v[66:67], s[10:11], v[205:206]
	v_fma_f64 v[157:158], v[183:184], s[12:13], v[157:158]
	v_fma_f64 v[118:119], v[183:184], s[16:17], v[118:119]
	v_fma_f64 v[183:184], v[52:53], s[10:11], v[207:208]
	v_fma_f64 v[205:206], v[36:37], s[12:13], v[34:35]
	v_fma_f64 v[207:208], v[36:37], s[16:17], v[40:41]
	v_fma_f64 v[34:35], v[76:77], s[4:5], v[62:63]
	v_fma_f64 v[211:212], v[175:176], s[16:17], v[44:45]
	v_fma_f64 v[36:37], v[76:77], s[10:11], v[62:63]
	v_fma_f64 v[40:41], v[58:59], s[10:11], v[96:97]
	v_fma_f64 v[44:45], v[58:59], s[4:5], v[96:97]
	v_fma_f64 v[96:97], v[46:47], s[10:11], v[104:105]
	v_fma_f64 v[104:105], v[46:47], s[4:5], v[104:105]
	v_fma_f64 v[56:57], v[175:176], s[12:13], v[56:57]
	v_fma_f64 v[62:63], v[225:226], s[16:17], v[72:73]
	v_fma_f64 v[72:73], v[215:216], s[12:13], v[195:196]
	v_fma_f64 v[153:154], v[52:53], s[12:13], v[153:154]
	v_fma_f64 v[175:176], v[52:53], s[16:17], v[197:198]
	v_fma_f64 v[52:53], v[78:79], s[4:5], v[108:109]
	v_add_f64_e64 v[195:196], v[50:51], -v[169:170]
	v_fma_f64 v[159:160], v[66:67], s[12:13], v[159:160]
	v_fma_f64 v[108:109], v[78:79], s[10:11], v[108:109]
	v_add_f64_e64 v[197:198], v[54:55], -v[102:103]
	v_fma_f64 v[151:152], v[82:83], s[16:17], v[151:152]
	v_fma_f64 v[82:83], v[82:83], s[12:13], v[199:200]
	;; [unrolled: 1-line block ×3, first 2 shown]
	v_add_f64_e64 v[66:67], v[64:65], -v[167:168]
	v_fma_f64 v[183:184], v[90:91], s[12:13], v[183:184]
	v_fma_f64 v[90:91], v[90:91], s[16:17], v[201:202]
	;; [unrolled: 1-line block ×14, first 2 shown]
	v_add_f64_e32 v[48:49], v[112:113], v[54:55]
	v_add_f64_e32 v[86:87], v[114:115], v[70:71]
	v_add_f64_e64 v[46:47], v[70:71], -v[50:51]
	v_fma_f64 v[98:99], v[58:59], s[16:17], v[52:53]
	v_fma_f64 v[52:53], v[195:196], s[4:5], v[74:75]
	v_add_f64_e64 v[54:55], v[64:65], -v[54:55]
	v_add_f64_e64 v[64:65], v[167:168], -v[102:103]
	;; [unrolled: 1-line block ×5, first 2 shown]
	v_fma_f64 v[108:109], v[58:59], s[12:13], v[108:109]
	v_fma_f64 v[58:59], v[197:198], s[4:5], v[106:107]
	;; [unrolled: 1-line block ×12, first 2 shown]
	v_add_f64_e32 v[90:91], v[100:101], v[181:182]
	v_add_f64_e32 v[195:196], v[48:49], v[102:103]
	;; [unrolled: 1-line block ×3, first 2 shown]
	v_fma_f64 v[48:49], v[173:174], s[14:15], v[205:206]
	v_add_f64_e32 v[88:89], v[193:194], v[177:178]
	v_fma_f64 v[219:220], v[209:210], s[12:13], v[52:53]
	v_fma_f64 v[52:53], v[173:174], s[14:15], v[207:208]
	v_add_f64_e32 v[203:204], v[54:55], v[64:65]
	v_fma_f64 v[54:55], v[187:188], s[14:15], v[56:57]
	v_add_f64_e32 v[223:224], v[50:51], v[70:71]
	v_add_f64_e32 v[116:117], v[46:47], v[44:45]
	v_fma_f64 v[44:45], v[147:148], s[14:15], v[118:119]
	v_fma_f64 v[165:166], v[66:67], s[16:17], v[58:59]
	;; [unrolled: 1-line block ×28, first 2 shown]
	v_add_f64_e32 v[108:109], v[195:196], v[167:168]
	v_add_f64_e32 v[110:111], v[221:222], v[169:170]
	v_fma_f64 v[112:113], v[203:204], s[14:15], v[219:220]
	v_fma_f64 v[102:103], v[116:117], s[14:15], v[165:166]
	;; [unrolled: 1-line block ×6, first 2 shown]
	ds_store_b128 v136, v[0:3]
	ds_store_b128 v136, v[12:15] offset:12000
	ds_store_b128 v136, v[24:27] offset:24000
	ds_store_b128 v136, v[28:31] offset:36000
	ds_store_b128 v136, v[16:19] offset:48000
	ds_store_b128 v142, v[4:7]
	ds_store_b128 v142, v[32:35] offset:12000
	ds_store_b128 v142, v[40:43] offset:24000
	ds_store_b128 v142, v[44:47] offset:36000
	ds_store_b128 v142, v[36:39] offset:48000
	;; [unrolled: 5-line block ×6, first 2 shown]
	global_wb scope:SCOPE_SE
	s_wait_dscnt 0x0
	s_barrier_signal -1
	s_barrier_wait -1
	global_inv scope:SCOPE_SE
	ds_load_b128 v[4:7], v136
	v_sub_nc_u32_e32 v12, 0, v121
                                        ; implicit-def: $vgpr2_vgpr3
                                        ; implicit-def: $vgpr10_vgpr11
                                        ; implicit-def: $vgpr8_vgpr9
	v_cmpx_ne_u32_e32 0, v120
	s_xor_b32 s1, exec_lo, s1
	s_cbranch_execz .LBB0_15
; %bb.14:
	v_mov_b32_e32 v121, v135
	s_delay_alu instid0(VALU_DEP_1) | instskip(NEXT) | instid1(VALU_DEP_1)
	v_lshlrev_b64_e32 v[0:1], 4, v[120:121]
	v_add_co_u32 v0, s0, s8, v0
	s_wait_alu 0xf1ff
	s_delay_alu instid0(VALU_DEP_2)
	v_add_co_ci_u32_e64 v1, s0, s9, v1, s0
	global_load_b128 v[8:11], v[0:1], off offset:59952
	ds_load_b128 v[0:3], v12 offset:60000
	s_wait_dscnt 0x0
	v_add_f64_e64 v[13:14], v[4:5], -v[0:1]
	v_add_f64_e32 v[15:16], v[6:7], v[2:3]
	v_add_f64_e64 v[2:3], v[6:7], -v[2:3]
	v_add_f64_e32 v[0:1], v[4:5], v[0:1]
	s_delay_alu instid0(VALU_DEP_4) | instskip(NEXT) | instid1(VALU_DEP_4)
	v_mul_f64_e32 v[6:7], 0.5, v[13:14]
	v_mul_f64_e32 v[4:5], 0.5, v[15:16]
	s_delay_alu instid0(VALU_DEP_4) | instskip(SKIP_1) | instid1(VALU_DEP_3)
	v_mul_f64_e32 v[2:3], 0.5, v[2:3]
	s_wait_loadcnt 0x0
	v_mul_f64_e32 v[13:14], v[6:7], v[10:11]
	s_delay_alu instid0(VALU_DEP_2) | instskip(SKIP_1) | instid1(VALU_DEP_3)
	v_fma_f64 v[15:16], v[4:5], v[10:11], v[2:3]
	v_fma_f64 v[2:3], v[4:5], v[10:11], -v[2:3]
	v_fma_f64 v[17:18], v[0:1], 0.5, v[13:14]
	v_fma_f64 v[0:1], v[0:1], 0.5, -v[13:14]
	s_delay_alu instid0(VALU_DEP_4) | instskip(NEXT) | instid1(VALU_DEP_4)
	v_fma_f64 v[10:11], -v[8:9], v[6:7], v[15:16]
	v_fma_f64 v[2:3], -v[8:9], v[6:7], v[2:3]
	s_delay_alu instid0(VALU_DEP_4) | instskip(NEXT) | instid1(VALU_DEP_4)
	v_fma_f64 v[13:14], v[4:5], v[8:9], v[17:18]
	v_fma_f64 v[0:1], -v[4:5], v[8:9], v[0:1]
	v_dual_mov_b32 v8, v120 :: v_dual_mov_b32 v9, v121
                                        ; implicit-def: $vgpr4_vgpr5
	ds_store_b64 v136, v[13:14]
.LBB0_15:
	s_wait_alu 0xfffe
	s_or_saveexec_b32 s0, s1
	v_sub_nc_u32_e32 v13, 0, v123
	v_sub_nc_u32_e32 v14, 0, v143
	s_wait_alu 0xfffe
	s_xor_b32 exec_lo, exec_lo, s0
	s_cbranch_execz .LBB0_17
; %bb.16:
	s_wait_dscnt 0x0
	v_add_f64_e32 v[15:16], v[4:5], v[6:7]
	v_add_f64_e64 v[0:1], v[4:5], -v[6:7]
	v_mov_b32_e32 v6, 0
	v_mov_b32_e32 v10, 0
	v_dual_mov_b32 v11, 0 :: v_dual_mov_b32 v8, 0
	s_delay_alu instid0(VALU_DEP_2)
	v_mov_b32_e32 v2, v10
	ds_load_b64 v[4:5], v6 offset:30008
	v_mov_b32_e32 v9, 0
	v_mov_b32_e32 v3, v11
	s_wait_dscnt 0x0
	v_xor_b32_e32 v5, 0x80000000, v5
	ds_store_b64 v136, v[15:16]
	ds_store_b64 v6, v[4:5] offset:30008
.LBB0_17:
	s_or_b32 exec_lo, exec_lo, s0
	v_dual_mov_b32 v123, 0 :: v_dual_add_nc_u32 v14, v138, v14
	s_wait_dscnt 0x0
	s_delay_alu instid0(VALU_DEP_1) | instskip(SKIP_1) | instid1(VALU_DEP_1)
	v_lshlrev_b64_e32 v[4:5], 4, v[122:123]
	v_mov_b32_e32 v134, v123
	v_lshlrev_b64_e32 v[15:16], 4, v[133:134]
	v_mov_b32_e32 v133, v123
	s_delay_alu instid0(VALU_DEP_4) | instskip(SKIP_2) | instid1(VALU_DEP_4)
	v_add_co_u32 v4, s0, s8, v4
	s_wait_alu 0xf1ff
	v_add_co_ci_u32_e64 v5, s0, s9, v5, s0
	v_add_co_u32 v15, s0, s8, v15
	s_wait_alu 0xf1ff
	v_add_co_ci_u32_e64 v16, s0, s9, v16, s0
	s_clause 0x1
	global_load_b128 v[4:7], v[4:5], off offset:59952
	global_load_b128 v[15:18], v[15:16], off offset:59952
	ds_store_b64 v136, v[10:11] offset:8
	ds_store_b128 v12, v[0:3] offset:60000
	ds_load_b128 v[0:3], v142
	ds_load_b128 v[19:22], v12 offset:58000
	s_wait_dscnt 0x0
	v_add_f64_e64 v[10:11], v[0:1], -v[19:20]
	v_add_f64_e32 v[23:24], v[2:3], v[21:22]
	v_add_f64_e64 v[2:3], v[2:3], -v[21:22]
	v_add_f64_e32 v[0:1], v[0:1], v[19:20]
	s_delay_alu instid0(VALU_DEP_4) | instskip(NEXT) | instid1(VALU_DEP_4)
	v_mul_f64_e32 v[10:11], 0.5, v[10:11]
	v_mul_f64_e32 v[21:22], 0.5, v[23:24]
	s_delay_alu instid0(VALU_DEP_4) | instskip(SKIP_1) | instid1(VALU_DEP_3)
	v_mul_f64_e32 v[2:3], 0.5, v[2:3]
	s_wait_loadcnt 0x1
	v_mul_f64_e32 v[19:20], v[10:11], v[6:7]
	s_delay_alu instid0(VALU_DEP_2) | instskip(SKIP_1) | instid1(VALU_DEP_3)
	v_fma_f64 v[23:24], v[21:22], v[6:7], v[2:3]
	v_fma_f64 v[6:7], v[21:22], v[6:7], -v[2:3]
	v_fma_f64 v[25:26], v[0:1], 0.5, v[19:20]
	v_fma_f64 v[19:20], v[0:1], 0.5, -v[19:20]
	s_delay_alu instid0(VALU_DEP_4) | instskip(NEXT) | instid1(VALU_DEP_4)
	v_fma_f64 v[2:3], -v[4:5], v[10:11], v[23:24]
	v_fma_f64 v[6:7], -v[4:5], v[10:11], v[6:7]
	v_lshlrev_b64_e32 v[10:11], 4, v[132:133]
	v_mov_b32_e32 v132, v123
	s_delay_alu instid0(VALU_DEP_2) | instskip(SKIP_1) | instid1(VALU_DEP_3)
	v_add_co_u32 v10, s0, s8, v10
	s_wait_alu 0xf1ff
	v_add_co_ci_u32_e64 v11, s0, s9, v11, s0
	v_fma_f64 v[0:1], v[21:22], v[4:5], v[25:26]
	v_fma_f64 v[4:5], -v[21:22], v[4:5], v[19:20]
	global_load_b128 v[19:22], v[10:11], off offset:59952
	ds_store_b128 v142, v[0:3]
	ds_store_b128 v12, v[4:7] offset:58000
	ds_load_b128 v[0:3], v140
	ds_load_b128 v[4:7], v12 offset:56000
	s_wait_dscnt 0x0
	v_add_f64_e64 v[10:11], v[0:1], -v[4:5]
	v_add_f64_e32 v[23:24], v[2:3], v[6:7]
	v_add_f64_e64 v[2:3], v[2:3], -v[6:7]
	v_add_f64_e32 v[0:1], v[0:1], v[4:5]
	s_delay_alu instid0(VALU_DEP_4) | instskip(NEXT) | instid1(VALU_DEP_4)
	v_mul_f64_e32 v[6:7], 0.5, v[10:11]
	v_mul_f64_e32 v[10:11], 0.5, v[23:24]
	s_delay_alu instid0(VALU_DEP_4) | instskip(SKIP_1) | instid1(VALU_DEP_3)
	v_mul_f64_e32 v[2:3], 0.5, v[2:3]
	s_wait_loadcnt 0x1
	v_mul_f64_e32 v[4:5], v[6:7], v[17:18]
	s_delay_alu instid0(VALU_DEP_2) | instskip(SKIP_1) | instid1(VALU_DEP_3)
	v_fma_f64 v[23:24], v[10:11], v[17:18], v[2:3]
	v_fma_f64 v[17:18], v[10:11], v[17:18], -v[2:3]
	v_fma_f64 v[25:26], v[0:1], 0.5, v[4:5]
	v_fma_f64 v[4:5], v[0:1], 0.5, -v[4:5]
	s_delay_alu instid0(VALU_DEP_4) | instskip(NEXT) | instid1(VALU_DEP_4)
	v_fma_f64 v[2:3], -v[15:16], v[6:7], v[23:24]
	v_fma_f64 v[6:7], -v[15:16], v[6:7], v[17:18]
	s_delay_alu instid0(VALU_DEP_4) | instskip(NEXT) | instid1(VALU_DEP_4)
	v_fma_f64 v[0:1], v[10:11], v[15:16], v[25:26]
	v_fma_f64 v[4:5], -v[10:11], v[15:16], v[4:5]
	v_lshlrev_b64_e32 v[10:11], 4, v[131:132]
	v_mov_b32_e32 v131, v123
	s_delay_alu instid0(VALU_DEP_2) | instskip(SKIP_1) | instid1(VALU_DEP_3)
	v_add_co_u32 v10, s0, s8, v10
	s_wait_alu 0xf1ff
	v_add_co_ci_u32_e64 v11, s0, s9, v11, s0
	global_load_b128 v[15:18], v[10:11], off offset:59952
	ds_store_b128 v140, v[0:3]
	ds_store_b128 v12, v[4:7] offset:56000
	ds_load_b128 v[0:3], v141
	ds_load_b128 v[4:7], v12 offset:54000
	s_wait_dscnt 0x0
	v_add_f64_e64 v[10:11], v[0:1], -v[4:5]
	v_add_f64_e32 v[23:24], v[2:3], v[6:7]
	v_add_f64_e64 v[2:3], v[2:3], -v[6:7]
	v_add_f64_e32 v[0:1], v[0:1], v[4:5]
	s_delay_alu instid0(VALU_DEP_4) | instskip(NEXT) | instid1(VALU_DEP_4)
	v_mul_f64_e32 v[6:7], 0.5, v[10:11]
	v_mul_f64_e32 v[10:11], 0.5, v[23:24]
	s_delay_alu instid0(VALU_DEP_4) | instskip(SKIP_1) | instid1(VALU_DEP_3)
	v_mul_f64_e32 v[2:3], 0.5, v[2:3]
	s_wait_loadcnt 0x1
	v_mul_f64_e32 v[4:5], v[6:7], v[21:22]
	s_delay_alu instid0(VALU_DEP_2) | instskip(SKIP_1) | instid1(VALU_DEP_3)
	v_fma_f64 v[23:24], v[10:11], v[21:22], v[2:3]
	v_fma_f64 v[21:22], v[10:11], v[21:22], -v[2:3]
	v_fma_f64 v[25:26], v[0:1], 0.5, v[4:5]
	v_fma_f64 v[4:5], v[0:1], 0.5, -v[4:5]
	s_delay_alu instid0(VALU_DEP_4) | instskip(NEXT) | instid1(VALU_DEP_4)
	v_fma_f64 v[2:3], -v[19:20], v[6:7], v[23:24]
	v_fma_f64 v[6:7], -v[19:20], v[6:7], v[21:22]
	s_delay_alu instid0(VALU_DEP_4) | instskip(NEXT) | instid1(VALU_DEP_4)
	v_fma_f64 v[0:1], v[10:11], v[19:20], v[25:26]
	v_fma_f64 v[4:5], -v[10:11], v[19:20], v[4:5]
	v_lshlrev_b64_e32 v[10:11], 4, v[130:131]
	v_mov_b32_e32 v130, v123
	s_delay_alu instid0(VALU_DEP_2) | instskip(SKIP_1) | instid1(VALU_DEP_3)
	v_add_co_u32 v10, s0, s8, v10
	s_wait_alu 0xf1ff
	v_add_co_ci_u32_e64 v11, s0, s9, v11, s0
	global_load_b128 v[19:22], v[10:11], off offset:59952
	ds_store_b128 v141, v[0:3]
	ds_store_b128 v12, v[4:7] offset:54000
	ds_load_b128 v[0:3], v139
	ds_load_b128 v[4:7], v12 offset:52000
	s_wait_dscnt 0x0
	v_add_f64_e64 v[10:11], v[0:1], -v[4:5]
	v_add_f64_e32 v[23:24], v[2:3], v[6:7]
	v_add_f64_e64 v[2:3], v[2:3], -v[6:7]
	v_add_f64_e32 v[0:1], v[0:1], v[4:5]
	s_delay_alu instid0(VALU_DEP_4) | instskip(NEXT) | instid1(VALU_DEP_4)
	v_mul_f64_e32 v[6:7], 0.5, v[10:11]
	v_mul_f64_e32 v[10:11], 0.5, v[23:24]
	s_delay_alu instid0(VALU_DEP_4) | instskip(SKIP_1) | instid1(VALU_DEP_3)
	v_mul_f64_e32 v[2:3], 0.5, v[2:3]
	s_wait_loadcnt 0x1
	v_mul_f64_e32 v[4:5], v[6:7], v[17:18]
	s_delay_alu instid0(VALU_DEP_2) | instskip(SKIP_1) | instid1(VALU_DEP_3)
	v_fma_f64 v[23:24], v[10:11], v[17:18], v[2:3]
	v_fma_f64 v[17:18], v[10:11], v[17:18], -v[2:3]
	v_fma_f64 v[25:26], v[0:1], 0.5, v[4:5]
	v_fma_f64 v[4:5], v[0:1], 0.5, -v[4:5]
	s_delay_alu instid0(VALU_DEP_4) | instskip(NEXT) | instid1(VALU_DEP_4)
	v_fma_f64 v[2:3], -v[15:16], v[6:7], v[23:24]
	v_fma_f64 v[6:7], -v[15:16], v[6:7], v[17:18]
	s_delay_alu instid0(VALU_DEP_4) | instskip(NEXT) | instid1(VALU_DEP_4)
	v_fma_f64 v[0:1], v[10:11], v[15:16], v[25:26]
	v_fma_f64 v[4:5], -v[10:11], v[15:16], v[4:5]
	v_lshlrev_b64_e32 v[10:11], 4, v[129:130]
	v_mov_b32_e32 v129, v123
	s_delay_alu instid0(VALU_DEP_2) | instskip(SKIP_1) | instid1(VALU_DEP_3)
	v_add_co_u32 v10, s0, s8, v10
	s_wait_alu 0xf1ff
	v_add_co_ci_u32_e64 v11, s0, s9, v11, s0
	s_add_nc_u64 s[0:1], s[8:9], 0xea30
	global_load_b128 v[15:18], v[10:11], off offset:59952
	ds_store_b128 v139, v[0:3]
	ds_store_b128 v12, v[4:7] offset:52000
	ds_load_b128 v[0:3], v14
	ds_load_b128 v[4:7], v12 offset:50000
	s_wait_dscnt 0x0
	v_add_f64_e64 v[10:11], v[0:1], -v[4:5]
	v_add_f64_e32 v[23:24], v[2:3], v[6:7]
	v_add_f64_e64 v[2:3], v[2:3], -v[6:7]
	v_add_f64_e32 v[0:1], v[0:1], v[4:5]
	s_delay_alu instid0(VALU_DEP_4) | instskip(NEXT) | instid1(VALU_DEP_4)
	v_mul_f64_e32 v[6:7], 0.5, v[10:11]
	v_mul_f64_e32 v[10:11], 0.5, v[23:24]
	s_delay_alu instid0(VALU_DEP_4) | instskip(SKIP_1) | instid1(VALU_DEP_3)
	v_mul_f64_e32 v[2:3], 0.5, v[2:3]
	s_wait_loadcnt 0x1
	v_mul_f64_e32 v[4:5], v[6:7], v[21:22]
	s_delay_alu instid0(VALU_DEP_2) | instskip(SKIP_1) | instid1(VALU_DEP_3)
	v_fma_f64 v[23:24], v[10:11], v[21:22], v[2:3]
	v_fma_f64 v[2:3], v[10:11], v[21:22], -v[2:3]
	v_fma_f64 v[25:26], v[0:1], 0.5, v[4:5]
	v_fma_f64 v[0:1], v[0:1], 0.5, -v[4:5]
	s_delay_alu instid0(VALU_DEP_4) | instskip(NEXT) | instid1(VALU_DEP_4)
	v_fma_f64 v[4:5], -v[19:20], v[6:7], v[23:24]
	v_fma_f64 v[21:22], -v[19:20], v[6:7], v[2:3]
	s_delay_alu instid0(VALU_DEP_4) | instskip(SKIP_4) | instid1(VALU_DEP_1)
	v_fma_f64 v[2:3], v[10:11], v[19:20], v[25:26]
	v_add_nc_u32_e32 v25, v137, v13
	v_fma_f64 v[19:20], -v[10:11], v[19:20], v[0:1]
	v_lshlrev_b64_e32 v[0:1], 4, v[8:9]
	s_wait_alu 0xfffe
	v_add_co_u32 v0, s0, s0, v0
	s_wait_alu 0xf1ff
	s_delay_alu instid0(VALU_DEP_2)
	v_add_co_ci_u32_e64 v1, s0, s1, v1, s0
	global_load_b128 v[6:9], v[0:1], off offset:14000
	ds_store_b128 v14, v[2:5]
	ds_store_b128 v12, v[19:22] offset:50000
	ds_load_b128 v[2:5], v25
	ds_load_b128 v[19:22], v12 offset:48000
	s_wait_dscnt 0x0
	v_add_f64_e64 v[10:11], v[2:3], -v[19:20]
	v_add_f64_e32 v[13:14], v[4:5], v[21:22]
	v_add_f64_e64 v[4:5], v[4:5], -v[21:22]
	v_add_f64_e32 v[2:3], v[2:3], v[19:20]
	s_delay_alu instid0(VALU_DEP_4) | instskip(NEXT) | instid1(VALU_DEP_4)
	v_mul_f64_e32 v[10:11], 0.5, v[10:11]
	v_mul_f64_e32 v[13:14], 0.5, v[13:14]
	s_delay_alu instid0(VALU_DEP_4) | instskip(SKIP_1) | instid1(VALU_DEP_3)
	v_mul_f64_e32 v[4:5], 0.5, v[4:5]
	s_wait_loadcnt 0x1
	v_mul_f64_e32 v[19:20], v[10:11], v[17:18]
	s_delay_alu instid0(VALU_DEP_2) | instskip(SKIP_1) | instid1(VALU_DEP_3)
	v_fma_f64 v[21:22], v[13:14], v[17:18], v[4:5]
	v_fma_f64 v[17:18], v[13:14], v[17:18], -v[4:5]
	v_fma_f64 v[23:24], v[2:3], 0.5, v[19:20]
	v_fma_f64 v[19:20], v[2:3], 0.5, -v[19:20]
	s_delay_alu instid0(VALU_DEP_4) | instskip(NEXT) | instid1(VALU_DEP_4)
	v_fma_f64 v[4:5], -v[15:16], v[10:11], v[21:22]
	v_fma_f64 v[17:18], -v[15:16], v[10:11], v[17:18]
	s_delay_alu instid0(VALU_DEP_4) | instskip(NEXT) | instid1(VALU_DEP_4)
	v_fma_f64 v[2:3], v[13:14], v[15:16], v[23:24]
	v_fma_f64 v[15:16], -v[13:14], v[15:16], v[19:20]
	global_load_b128 v[19:22], v[0:1], off offset:16000
	ds_store_b128 v25, v[2:5]
	ds_store_b128 v12, v[15:18] offset:48000
	ds_load_b128 v[2:5], v136 offset:14000
	ds_load_b128 v[13:16], v12 offset:46000
	s_wait_dscnt 0x0
	v_add_f64_e64 v[10:11], v[2:3], -v[13:14]
	v_add_f64_e32 v[17:18], v[4:5], v[15:16]
	v_add_f64_e64 v[4:5], v[4:5], -v[15:16]
	v_add_f64_e32 v[2:3], v[2:3], v[13:14]
	s_delay_alu instid0(VALU_DEP_4) | instskip(NEXT) | instid1(VALU_DEP_4)
	v_mul_f64_e32 v[10:11], 0.5, v[10:11]
	v_mul_f64_e32 v[15:16], 0.5, v[17:18]
	s_delay_alu instid0(VALU_DEP_4) | instskip(SKIP_1) | instid1(VALU_DEP_3)
	v_mul_f64_e32 v[4:5], 0.5, v[4:5]
	s_wait_loadcnt 0x1
	v_mul_f64_e32 v[13:14], v[10:11], v[8:9]
	s_delay_alu instid0(VALU_DEP_2) | instskip(SKIP_1) | instid1(VALU_DEP_3)
	v_fma_f64 v[17:18], v[15:16], v[8:9], v[4:5]
	v_fma_f64 v[8:9], v[15:16], v[8:9], -v[4:5]
	v_fma_f64 v[23:24], v[2:3], 0.5, v[13:14]
	v_fma_f64 v[13:14], v[2:3], 0.5, -v[13:14]
	s_delay_alu instid0(VALU_DEP_4) | instskip(NEXT) | instid1(VALU_DEP_4)
	v_fma_f64 v[4:5], -v[6:7], v[10:11], v[17:18]
	v_fma_f64 v[8:9], -v[6:7], v[10:11], v[8:9]
	v_lshlrev_b64_e32 v[10:11], 4, v[128:129]
	s_delay_alu instid0(VALU_DEP_1) | instskip(SKIP_1) | instid1(VALU_DEP_2)
	v_add_co_u32 v10, s0, s8, v10
	s_wait_alu 0xf1ff
	v_add_co_ci_u32_e64 v11, s0, s9, v11, s0
	v_fma_f64 v[2:3], v[15:16], v[6:7], v[23:24]
	v_fma_f64 v[6:7], -v[15:16], v[6:7], v[13:14]
	global_load_b128 v[13:16], v[10:11], off offset:59952
	ds_store_b128 v136, v[2:5] offset:14000
	ds_store_b128 v12, v[6:9] offset:46000
	ds_load_b128 v[2:5], v136 offset:16000
	ds_load_b128 v[6:9], v12 offset:44000
	s_wait_dscnt 0x0
	v_add_f64_e64 v[10:11], v[2:3], -v[6:7]
	v_add_f64_e32 v[17:18], v[4:5], v[8:9]
	v_add_f64_e64 v[4:5], v[4:5], -v[8:9]
	v_add_f64_e32 v[2:3], v[2:3], v[6:7]
	s_delay_alu instid0(VALU_DEP_4) | instskip(NEXT) | instid1(VALU_DEP_4)
	v_mul_f64_e32 v[8:9], 0.5, v[10:11]
	v_mul_f64_e32 v[10:11], 0.5, v[17:18]
	s_delay_alu instid0(VALU_DEP_4) | instskip(SKIP_1) | instid1(VALU_DEP_3)
	v_mul_f64_e32 v[4:5], 0.5, v[4:5]
	s_wait_loadcnt 0x1
	v_mul_f64_e32 v[6:7], v[8:9], v[21:22]
	s_delay_alu instid0(VALU_DEP_2) | instskip(SKIP_1) | instid1(VALU_DEP_3)
	v_fma_f64 v[17:18], v[10:11], v[21:22], v[4:5]
	v_fma_f64 v[21:22], v[10:11], v[21:22], -v[4:5]
	v_fma_f64 v[23:24], v[2:3], 0.5, v[6:7]
	v_fma_f64 v[6:7], v[2:3], 0.5, -v[6:7]
	s_delay_alu instid0(VALU_DEP_4) | instskip(NEXT) | instid1(VALU_DEP_4)
	v_fma_f64 v[4:5], -v[19:20], v[8:9], v[17:18]
	v_fma_f64 v[8:9], -v[19:20], v[8:9], v[21:22]
	s_delay_alu instid0(VALU_DEP_4) | instskip(NEXT) | instid1(VALU_DEP_4)
	v_fma_f64 v[2:3], v[10:11], v[19:20], v[23:24]
	v_fma_f64 v[6:7], -v[10:11], v[19:20], v[6:7]
	global_load_b128 v[17:20], v[0:1], off offset:20000
	ds_store_b128 v136, v[2:5] offset:16000
	ds_store_b128 v12, v[6:9] offset:44000
	ds_load_b128 v[2:5], v146
	ds_load_b128 v[6:9], v12 offset:42000
	s_wait_dscnt 0x0
	v_add_f64_e64 v[10:11], v[2:3], -v[6:7]
	v_add_f64_e32 v[21:22], v[4:5], v[8:9]
	v_add_f64_e64 v[4:5], v[4:5], -v[8:9]
	v_add_f64_e32 v[2:3], v[2:3], v[6:7]
	s_delay_alu instid0(VALU_DEP_4) | instskip(NEXT) | instid1(VALU_DEP_4)
	v_mul_f64_e32 v[23:24], 0.5, v[10:11]
	v_mul_f64_e32 v[21:22], 0.5, v[21:22]
	s_delay_alu instid0(VALU_DEP_4)
	v_mul_f64_e32 v[4:5], 0.5, v[4:5]
	global_load_b128 v[8:11], v[0:1], off offset:28000
	s_wait_loadcnt 0x2
	v_mul_f64_e32 v[6:7], v[23:24], v[15:16]
	v_fma_f64 v[25:26], v[21:22], v[15:16], v[4:5]
	v_fma_f64 v[15:16], v[21:22], v[15:16], -v[4:5]
	s_delay_alu instid0(VALU_DEP_3) | instskip(SKIP_1) | instid1(VALU_DEP_4)
	v_fma_f64 v[27:28], v[2:3], 0.5, v[6:7]
	v_fma_f64 v[6:7], v[2:3], 0.5, -v[6:7]
	v_fma_f64 v[4:5], -v[13:14], v[23:24], v[25:26]
	s_delay_alu instid0(VALU_DEP_4) | instskip(NEXT) | instid1(VALU_DEP_4)
	v_fma_f64 v[15:16], -v[13:14], v[23:24], v[15:16]
	v_fma_f64 v[2:3], v[21:22], v[13:14], v[27:28]
	s_delay_alu instid0(VALU_DEP_4)
	v_fma_f64 v[13:14], -v[21:22], v[13:14], v[6:7]
	global_load_b128 v[21:24], v[0:1], off offset:22000
	ds_store_b128 v146, v[2:5]
	ds_store_b128 v12, v[13:16] offset:42000
	ds_load_b128 v[2:5], v136 offset:20000
	ds_load_b128 v[13:16], v12 offset:40000
	s_wait_dscnt 0x0
	v_add_f64_e64 v[6:7], v[2:3], -v[13:14]
	v_add_f64_e32 v[25:26], v[4:5], v[15:16]
	v_add_f64_e64 v[4:5], v[4:5], -v[15:16]
	v_add_f64_e32 v[2:3], v[2:3], v[13:14]
	s_delay_alu instid0(VALU_DEP_4) | instskip(NEXT) | instid1(VALU_DEP_4)
	v_mul_f64_e32 v[6:7], 0.5, v[6:7]
	v_mul_f64_e32 v[25:26], 0.5, v[25:26]
	s_delay_alu instid0(VALU_DEP_4) | instskip(SKIP_1) | instid1(VALU_DEP_3)
	v_mul_f64_e32 v[4:5], 0.5, v[4:5]
	s_wait_loadcnt 0x2
	v_mul_f64_e32 v[13:14], v[6:7], v[19:20]
	s_delay_alu instid0(VALU_DEP_2) | instskip(SKIP_1) | instid1(VALU_DEP_3)
	v_fma_f64 v[15:16], v[25:26], v[19:20], v[4:5]
	v_fma_f64 v[19:20], v[25:26], v[19:20], -v[4:5]
	v_fma_f64 v[27:28], v[2:3], 0.5, v[13:14]
	v_fma_f64 v[13:14], v[2:3], 0.5, -v[13:14]
	s_delay_alu instid0(VALU_DEP_4) | instskip(NEXT) | instid1(VALU_DEP_4)
	v_fma_f64 v[4:5], -v[17:18], v[6:7], v[15:16]
	v_fma_f64 v[15:16], -v[17:18], v[6:7], v[19:20]
	s_delay_alu instid0(VALU_DEP_4) | instskip(NEXT) | instid1(VALU_DEP_4)
	v_fma_f64 v[2:3], v[25:26], v[17:18], v[27:28]
	v_fma_f64 v[13:14], -v[25:26], v[17:18], v[13:14]
	global_load_b128 v[17:20], v[0:1], off offset:24000
	ds_store_b128 v136, v[2:5] offset:20000
	ds_store_b128 v12, v[13:16] offset:40000
	ds_load_b128 v[2:5], v136 offset:22000
	ds_load_b128 v[13:16], v12 offset:38000
	s_wait_dscnt 0x0
	v_add_f64_e64 v[6:7], v[2:3], -v[13:14]
	v_add_f64_e32 v[25:26], v[4:5], v[15:16]
	v_add_f64_e64 v[4:5], v[4:5], -v[15:16]
	v_add_f64_e32 v[2:3], v[2:3], v[13:14]
	s_delay_alu instid0(VALU_DEP_4) | instskip(NEXT) | instid1(VALU_DEP_4)
	v_mul_f64_e32 v[6:7], 0.5, v[6:7]
	v_mul_f64_e32 v[25:26], 0.5, v[25:26]
	s_delay_alu instid0(VALU_DEP_4) | instskip(SKIP_1) | instid1(VALU_DEP_3)
	v_mul_f64_e32 v[4:5], 0.5, v[4:5]
	s_wait_loadcnt 0x1
	v_mul_f64_e32 v[13:14], v[6:7], v[23:24]
	s_delay_alu instid0(VALU_DEP_2) | instskip(SKIP_1) | instid1(VALU_DEP_3)
	v_fma_f64 v[15:16], v[25:26], v[23:24], v[4:5]
	v_fma_f64 v[23:24], v[25:26], v[23:24], -v[4:5]
	v_fma_f64 v[27:28], v[2:3], 0.5, v[13:14]
	v_fma_f64 v[13:14], v[2:3], 0.5, -v[13:14]
	s_delay_alu instid0(VALU_DEP_4) | instskip(NEXT) | instid1(VALU_DEP_4)
	v_fma_f64 v[4:5], -v[21:22], v[6:7], v[15:16]
	v_fma_f64 v[15:16], -v[21:22], v[6:7], v[23:24]
	s_delay_alu instid0(VALU_DEP_4) | instskip(NEXT) | instid1(VALU_DEP_4)
	v_fma_f64 v[2:3], v[25:26], v[21:22], v[27:28]
	v_fma_f64 v[13:14], -v[25:26], v[21:22], v[13:14]
	global_load_b128 v[21:24], v[0:1], off offset:26000
	ds_store_b128 v136, v[2:5] offset:22000
	ds_store_b128 v12, v[13:16] offset:38000
	ds_load_b128 v[0:3], v136 offset:24000
	ds_load_b128 v[4:7], v12 offset:36000
	s_wait_dscnt 0x0
	v_add_f64_e64 v[13:14], v[0:1], -v[4:5]
	v_add_f64_e32 v[15:16], v[2:3], v[6:7]
	v_add_f64_e64 v[2:3], v[2:3], -v[6:7]
	v_add_f64_e32 v[0:1], v[0:1], v[4:5]
	s_delay_alu instid0(VALU_DEP_4) | instskip(NEXT) | instid1(VALU_DEP_4)
	v_mul_f64_e32 v[6:7], 0.5, v[13:14]
	v_mul_f64_e32 v[13:14], 0.5, v[15:16]
	s_delay_alu instid0(VALU_DEP_4) | instskip(SKIP_1) | instid1(VALU_DEP_3)
	v_mul_f64_e32 v[2:3], 0.5, v[2:3]
	s_wait_loadcnt 0x1
	v_mul_f64_e32 v[4:5], v[6:7], v[19:20]
	s_delay_alu instid0(VALU_DEP_2) | instskip(SKIP_1) | instid1(VALU_DEP_3)
	v_fma_f64 v[15:16], v[13:14], v[19:20], v[2:3]
	v_fma_f64 v[19:20], v[13:14], v[19:20], -v[2:3]
	v_fma_f64 v[25:26], v[0:1], 0.5, v[4:5]
	v_fma_f64 v[4:5], v[0:1], 0.5, -v[4:5]
	s_delay_alu instid0(VALU_DEP_4) | instskip(NEXT) | instid1(VALU_DEP_4)
	v_fma_f64 v[2:3], -v[17:18], v[6:7], v[15:16]
	v_fma_f64 v[6:7], -v[17:18], v[6:7], v[19:20]
	s_delay_alu instid0(VALU_DEP_4) | instskip(NEXT) | instid1(VALU_DEP_4)
	v_fma_f64 v[0:1], v[13:14], v[17:18], v[25:26]
	v_fma_f64 v[4:5], -v[13:14], v[17:18], v[4:5]
	ds_store_b128 v136, v[0:3] offset:24000
	ds_store_b128 v12, v[4:7] offset:36000
	ds_load_b128 v[0:3], v136 offset:26000
	ds_load_b128 v[4:7], v12 offset:34000
	s_wait_dscnt 0x0
	v_add_f64_e64 v[13:14], v[0:1], -v[4:5]
	v_add_f64_e32 v[15:16], v[2:3], v[6:7]
	v_add_f64_e64 v[2:3], v[2:3], -v[6:7]
	v_add_f64_e32 v[0:1], v[0:1], v[4:5]
	s_delay_alu instid0(VALU_DEP_4) | instskip(NEXT) | instid1(VALU_DEP_4)
	v_mul_f64_e32 v[6:7], 0.5, v[13:14]
	v_mul_f64_e32 v[13:14], 0.5, v[15:16]
	s_delay_alu instid0(VALU_DEP_4) | instskip(SKIP_1) | instid1(VALU_DEP_3)
	v_mul_f64_e32 v[2:3], 0.5, v[2:3]
	s_wait_loadcnt 0x0
	v_mul_f64_e32 v[4:5], v[6:7], v[23:24]
	s_delay_alu instid0(VALU_DEP_2) | instskip(SKIP_1) | instid1(VALU_DEP_3)
	v_fma_f64 v[15:16], v[13:14], v[23:24], v[2:3]
	v_fma_f64 v[17:18], v[13:14], v[23:24], -v[2:3]
	v_fma_f64 v[19:20], v[0:1], 0.5, v[4:5]
	v_fma_f64 v[4:5], v[0:1], 0.5, -v[4:5]
	s_delay_alu instid0(VALU_DEP_4) | instskip(NEXT) | instid1(VALU_DEP_4)
	v_fma_f64 v[2:3], -v[21:22], v[6:7], v[15:16]
	v_fma_f64 v[6:7], -v[21:22], v[6:7], v[17:18]
	s_delay_alu instid0(VALU_DEP_4) | instskip(NEXT) | instid1(VALU_DEP_4)
	v_fma_f64 v[0:1], v[13:14], v[21:22], v[19:20]
	v_fma_f64 v[4:5], -v[13:14], v[21:22], v[4:5]
	ds_store_b128 v136, v[0:3] offset:26000
	ds_store_b128 v12, v[4:7] offset:34000
	ds_load_b128 v[0:3], v136 offset:28000
	ds_load_b128 v[4:7], v12 offset:32000
	s_wait_dscnt 0x0
	v_add_f64_e64 v[13:14], v[0:1], -v[4:5]
	v_add_f64_e32 v[15:16], v[2:3], v[6:7]
	v_add_f64_e64 v[2:3], v[2:3], -v[6:7]
	v_add_f64_e32 v[0:1], v[0:1], v[4:5]
	s_delay_alu instid0(VALU_DEP_4) | instskip(NEXT) | instid1(VALU_DEP_4)
	v_mul_f64_e32 v[6:7], 0.5, v[13:14]
	v_mul_f64_e32 v[13:14], 0.5, v[15:16]
	s_delay_alu instid0(VALU_DEP_4) | instskip(NEXT) | instid1(VALU_DEP_3)
	v_mul_f64_e32 v[2:3], 0.5, v[2:3]
	v_mul_f64_e32 v[4:5], v[6:7], v[10:11]
	s_delay_alu instid0(VALU_DEP_2) | instskip(SKIP_1) | instid1(VALU_DEP_3)
	v_fma_f64 v[15:16], v[13:14], v[10:11], v[2:3]
	v_fma_f64 v[10:11], v[13:14], v[10:11], -v[2:3]
	v_fma_f64 v[17:18], v[0:1], 0.5, v[4:5]
	v_fma_f64 v[4:5], v[0:1], 0.5, -v[4:5]
	s_delay_alu instid0(VALU_DEP_4) | instskip(NEXT) | instid1(VALU_DEP_4)
	v_fma_f64 v[2:3], -v[8:9], v[6:7], v[15:16]
	v_fma_f64 v[6:7], -v[8:9], v[6:7], v[10:11]
	s_delay_alu instid0(VALU_DEP_4) | instskip(NEXT) | instid1(VALU_DEP_4)
	v_fma_f64 v[0:1], v[13:14], v[8:9], v[17:18]
	v_fma_f64 v[4:5], -v[13:14], v[8:9], v[4:5]
	ds_store_b128 v136, v[0:3] offset:28000
	ds_store_b128 v12, v[4:7] offset:32000
	global_wb scope:SCOPE_SE
	s_wait_dscnt 0x0
	s_barrier_signal -1
	s_barrier_wait -1
	global_inv scope:SCOPE_SE
	s_and_saveexec_b32 s0, vcc_lo
	s_cbranch_execz .LBB0_20
; %bb.18:
	v_mul_lo_u32 v2, s3, v126
	v_mul_lo_u32 v3, s2, v127
	v_mad_co_u64_u32 v[0:1], null, s2, v126, 0
	v_lshl_add_u32 v32, v120, 4, 0
	v_dual_mov_b32 v121, v123 :: v_dual_add_nc_u32 v122, 0x7d, v120
	v_lshlrev_b64_e32 v[10:11], 4, v[124:125]
	ds_load_b128 v[6:9], v32 offset:2000
	v_add3_u32 v1, v1, v3, v2
	ds_load_b128 v[2:5], v32
	v_lshlrev_b64_e32 v[12:13], 4, v[120:121]
	v_lshlrev_b64_e32 v[14:15], 4, v[122:123]
	v_add_nc_u32_e32 v122, 0xfa, v120
	v_lshlrev_b64_e32 v[0:1], 4, v[0:1]
	s_delay_alu instid0(VALU_DEP_2) | instskip(SKIP_1) | instid1(VALU_DEP_3)
	v_lshlrev_b64_e32 v[22:23], 4, v[122:123]
	v_add_nc_u32_e32 v122, 0x177, v120
	v_add_co_u32 v0, vcc_lo, s6, v0
	s_wait_alu 0xfffd
	s_delay_alu instid0(VALU_DEP_4) | instskip(NEXT) | instid1(VALU_DEP_3)
	v_add_co_ci_u32_e32 v1, vcc_lo, s7, v1, vcc_lo
	v_lshlrev_b64_e32 v[24:25], 4, v[122:123]
	s_delay_alu instid0(VALU_DEP_3) | instskip(SKIP_1) | instid1(VALU_DEP_3)
	v_add_co_u32 v0, vcc_lo, v0, v10
	s_wait_alu 0xfffd
	v_add_co_ci_u32_e32 v1, vcc_lo, v1, v11, vcc_lo
	v_add_nc_u32_e32 v122, 0x1f4, v120
	s_delay_alu instid0(VALU_DEP_3) | instskip(SKIP_1) | instid1(VALU_DEP_3)
	v_add_co_u32 v18, vcc_lo, v0, v12
	s_wait_alu 0xfffd
	v_add_co_ci_u32_e32 v19, vcc_lo, v1, v13, vcc_lo
	v_add_co_u32 v20, vcc_lo, v0, v14
	s_wait_alu 0xfffd
	v_add_co_ci_u32_e32 v21, vcc_lo, v1, v15, vcc_lo
	ds_load_b128 v[10:13], v32 offset:4000
	ds_load_b128 v[14:17], v32 offset:58000
	s_wait_dscnt 0x2
	s_clause 0x1
	global_store_b128 v[18:19], v[2:5], off
	global_store_b128 v[20:21], v[6:9], off
	ds_load_b128 v[2:5], v32 offset:6000
	ds_load_b128 v[6:9], v32 offset:8000
	;; [unrolled: 1-line block ×3, first 2 shown]
	v_lshlrev_b64_e32 v[26:27], 4, v[122:123]
	v_add_nc_u32_e32 v122, 0x271, v120
	v_add_co_u32 v22, vcc_lo, v0, v22
	s_wait_alu 0xfffd
	v_add_co_ci_u32_e32 v23, vcc_lo, v1, v23, vcc_lo
	v_add_co_u32 v24, vcc_lo, v0, v24
	v_lshlrev_b64_e32 v[28:29], 4, v[122:123]
	v_add_nc_u32_e32 v122, 0x2ee, v120
	s_wait_alu 0xfffd
	v_add_co_ci_u32_e32 v25, vcc_lo, v1, v25, vcc_lo
	v_add_co_u32 v26, vcc_lo, v0, v26
	s_wait_alu 0xfffd
	v_add_co_ci_u32_e32 v27, vcc_lo, v1, v27, vcc_lo
	v_add_co_u32 v28, vcc_lo, v0, v28
	v_lshlrev_b64_e32 v[30:31], 4, v[122:123]
	v_add_nc_u32_e32 v122, 0x36b, v120
	s_wait_alu 0xfffd
	v_add_co_ci_u32_e32 v29, vcc_lo, v1, v29, vcc_lo
	s_wait_dscnt 0x4
	global_store_b128 v[22:23], v[10:13], off
	s_wait_dscnt 0x2
	global_store_b128 v[24:25], v[2:5], off
	ds_load_b128 v[2:5], v32 offset:12000
	v_lshlrev_b64_e32 v[22:23], 4, v[122:123]
	v_add_nc_u32_e32 v122, 0x3e8, v120
	s_wait_dscnt 0x2
	global_store_b128 v[26:27], v[6:9], off
	s_wait_dscnt 0x1
	global_store_b128 v[28:29], v[18:21], off
	ds_load_b128 v[6:9], v32 offset:14000
	ds_load_b128 v[10:13], v32 offset:16000
	ds_load_b128 v[18:21], v32 offset:18000
	v_add_co_u32 v24, vcc_lo, v0, v30
	v_lshlrev_b64_e32 v[26:27], 4, v[122:123]
	v_add_nc_u32_e32 v122, 0x465, v120
	s_wait_alu 0xfffd
	v_add_co_ci_u32_e32 v25, vcc_lo, v1, v31, vcc_lo
	v_add_co_u32 v22, vcc_lo, v0, v22
	s_delay_alu instid0(VALU_DEP_3)
	v_lshlrev_b64_e32 v[28:29], 4, v[122:123]
	v_add_nc_u32_e32 v122, 0x4e2, v120
	s_wait_alu 0xfffd
	v_add_co_ci_u32_e32 v23, vcc_lo, v1, v23, vcc_lo
	v_add_co_u32 v26, vcc_lo, v0, v26
	s_wait_alu 0xfffd
	v_add_co_ci_u32_e32 v27, vcc_lo, v1, v27, vcc_lo
	v_add_co_u32 v28, vcc_lo, v0, v28
	v_lshlrev_b64_e32 v[30:31], 4, v[122:123]
	v_add_nc_u32_e32 v122, 0x55f, v120
	s_wait_alu 0xfffd
	v_add_co_ci_u32_e32 v29, vcc_lo, v1, v29, vcc_lo
	s_wait_dscnt 0x3
	global_store_b128 v[24:25], v[2:5], off
	s_wait_dscnt 0x2
	global_store_b128 v[22:23], v[6:9], off
	ds_load_b128 v[2:5], v32 offset:20000
	v_lshlrev_b64_e32 v[22:23], 4, v[122:123]
	v_add_nc_u32_e32 v122, 0x5dc, v120
	s_wait_dscnt 0x2
	global_store_b128 v[26:27], v[10:13], off
	s_wait_dscnt 0x1
	global_store_b128 v[28:29], v[18:21], off
	ds_load_b128 v[6:9], v32 offset:22000
	ds_load_b128 v[10:13], v32 offset:24000
	ds_load_b128 v[18:21], v32 offset:26000
	v_add_co_u32 v24, vcc_lo, v0, v30
	v_lshlrev_b64_e32 v[26:27], 4, v[122:123]
	v_add_nc_u32_e32 v122, 0x659, v120
	s_wait_alu 0xfffd
	v_add_co_ci_u32_e32 v25, vcc_lo, v1, v31, vcc_lo
	v_add_co_u32 v22, vcc_lo, v0, v22
	s_delay_alu instid0(VALU_DEP_3)
	;; [unrolled: 33-line block ×5, first 2 shown]
	v_lshlrev_b64_e32 v[28:29], 4, v[122:123]
	s_wait_alu 0xfffd
	v_add_co_ci_u32_e32 v23, vcc_lo, v1, v23, vcc_lo
	v_add_nc_u32_e32 v122, 0xcb2, v120
	v_add_co_u32 v26, vcc_lo, v0, v26
	s_wait_alu 0xfffd
	v_add_co_ci_u32_e32 v27, vcc_lo, v1, v27, vcc_lo
	v_add_co_u32 v28, vcc_lo, v0, v28
	v_lshlrev_b64_e32 v[30:31], 4, v[122:123]
	v_add_nc_u32_e32 v122, 0xd2f, v120
	s_wait_alu 0xfffd
	v_add_co_ci_u32_e32 v29, vcc_lo, v1, v29, vcc_lo
	s_wait_dscnt 0x3
	global_store_b128 v[24:25], v[2:5], off
	s_wait_dscnt 0x2
	global_store_b128 v[22:23], v[6:9], off
	ds_load_b128 v[2:5], v32 offset:52000
	s_wait_dscnt 0x2
	global_store_b128 v[26:27], v[10:13], off
	s_wait_dscnt 0x1
	global_store_b128 v[28:29], v[18:21], off
	v_lshlrev_b64_e32 v[18:19], 4, v[122:123]
	v_add_nc_u32_e32 v122, 0xdac, v120
	ds_load_b128 v[6:9], v32 offset:54000
	ds_load_b128 v[10:13], v32 offset:56000
	v_add_co_u32 v20, vcc_lo, v0, v30
	s_wait_alu 0xfffd
	v_add_co_ci_u32_e32 v21, vcc_lo, v1, v31, vcc_lo
	v_lshlrev_b64_e32 v[22:23], 4, v[122:123]
	v_add_nc_u32_e32 v122, 0xe29, v120
	v_add_co_u32 v18, vcc_lo, v0, v18
	s_wait_alu 0xfffd
	v_add_co_ci_u32_e32 v19, vcc_lo, v1, v19, vcc_lo
	s_delay_alu instid0(VALU_DEP_3) | instskip(SKIP_3) | instid1(VALU_DEP_3)
	v_lshlrev_b64_e32 v[24:25], 4, v[122:123]
	v_add_co_u32 v22, vcc_lo, v0, v22
	s_wait_alu 0xfffd
	v_add_co_ci_u32_e32 v23, vcc_lo, v1, v23, vcc_lo
	v_add_co_u32 v24, vcc_lo, v0, v24
	s_wait_alu 0xfffd
	v_add_co_ci_u32_e32 v25, vcc_lo, v1, v25, vcc_lo
	v_cmp_eq_u32_e32 vcc_lo, 0x7c, v120
	s_wait_dscnt 0x2
	global_store_b128 v[20:21], v[2:5], off
	s_wait_dscnt 0x1
	global_store_b128 v[18:19], v[6:9], off
	s_wait_dscnt 0x0
	s_clause 0x1
	global_store_b128 v[22:23], v[10:13], off
	global_store_b128 v[24:25], v[14:17], off
	s_and_b32 exec_lo, exec_lo, vcc_lo
	s_cbranch_execz .LBB0_20
; %bb.19:
	v_mov_b32_e32 v2, 0
	ds_load_b128 v[2:5], v2 offset:60000
	s_wait_dscnt 0x0
	global_store_b128 v[0:1], v[2:5], off offset:60000
.LBB0_20:
	s_nop 0
	s_sendmsg sendmsg(MSG_DEALLOC_VGPRS)
	s_endpgm
	.section	.rodata,"a",@progbits
	.p2align	6, 0x0
	.amdhsa_kernel fft_rtc_back_len3750_factors_3_5_5_10_5_wgs_125_tpt_125_halfLds_dp_op_CI_CI_unitstride_sbrr_R2C_dirReg
		.amdhsa_group_segment_fixed_size 0
		.amdhsa_private_segment_fixed_size 0
		.amdhsa_kernarg_size 104
		.amdhsa_user_sgpr_count 2
		.amdhsa_user_sgpr_dispatch_ptr 0
		.amdhsa_user_sgpr_queue_ptr 0
		.amdhsa_user_sgpr_kernarg_segment_ptr 1
		.amdhsa_user_sgpr_dispatch_id 0
		.amdhsa_user_sgpr_private_segment_size 0
		.amdhsa_wavefront_size32 1
		.amdhsa_uses_dynamic_stack 0
		.amdhsa_enable_private_segment 0
		.amdhsa_system_sgpr_workgroup_id_x 1
		.amdhsa_system_sgpr_workgroup_id_y 0
		.amdhsa_system_sgpr_workgroup_id_z 0
		.amdhsa_system_sgpr_workgroup_info 0
		.amdhsa_system_vgpr_workitem_id 0
		.amdhsa_next_free_vgpr 229
		.amdhsa_next_free_sgpr 39
		.amdhsa_reserve_vcc 1
		.amdhsa_float_round_mode_32 0
		.amdhsa_float_round_mode_16_64 0
		.amdhsa_float_denorm_mode_32 3
		.amdhsa_float_denorm_mode_16_64 3
		.amdhsa_fp16_overflow 0
		.amdhsa_workgroup_processor_mode 1
		.amdhsa_memory_ordered 1
		.amdhsa_forward_progress 0
		.amdhsa_round_robin_scheduling 0
		.amdhsa_exception_fp_ieee_invalid_op 0
		.amdhsa_exception_fp_denorm_src 0
		.amdhsa_exception_fp_ieee_div_zero 0
		.amdhsa_exception_fp_ieee_overflow 0
		.amdhsa_exception_fp_ieee_underflow 0
		.amdhsa_exception_fp_ieee_inexact 0
		.amdhsa_exception_int_div_zero 0
	.end_amdhsa_kernel
	.text
.Lfunc_end0:
	.size	fft_rtc_back_len3750_factors_3_5_5_10_5_wgs_125_tpt_125_halfLds_dp_op_CI_CI_unitstride_sbrr_R2C_dirReg, .Lfunc_end0-fft_rtc_back_len3750_factors_3_5_5_10_5_wgs_125_tpt_125_halfLds_dp_op_CI_CI_unitstride_sbrr_R2C_dirReg
                                        ; -- End function
	.section	.AMDGPU.csdata,"",@progbits
; Kernel info:
; codeLenInByte = 26580
; NumSgprs: 41
; NumVgprs: 229
; ScratchSize: 0
; MemoryBound: 0
; FloatMode: 240
; IeeeMode: 1
; LDSByteSize: 0 bytes/workgroup (compile time only)
; SGPRBlocks: 5
; VGPRBlocks: 28
; NumSGPRsForWavesPerEU: 41
; NumVGPRsForWavesPerEU: 229
; Occupancy: 6
; WaveLimiterHint : 1
; COMPUTE_PGM_RSRC2:SCRATCH_EN: 0
; COMPUTE_PGM_RSRC2:USER_SGPR: 2
; COMPUTE_PGM_RSRC2:TRAP_HANDLER: 0
; COMPUTE_PGM_RSRC2:TGID_X_EN: 1
; COMPUTE_PGM_RSRC2:TGID_Y_EN: 0
; COMPUTE_PGM_RSRC2:TGID_Z_EN: 0
; COMPUTE_PGM_RSRC2:TIDIG_COMP_CNT: 0
	.text
	.p2alignl 7, 3214868480
	.fill 96, 4, 3214868480
	.type	__hip_cuid_c4f44afbfa270204,@object ; @__hip_cuid_c4f44afbfa270204
	.section	.bss,"aw",@nobits
	.globl	__hip_cuid_c4f44afbfa270204
__hip_cuid_c4f44afbfa270204:
	.byte	0                               ; 0x0
	.size	__hip_cuid_c4f44afbfa270204, 1

	.ident	"AMD clang version 19.0.0git (https://github.com/RadeonOpenCompute/llvm-project roc-6.4.0 25133 c7fe45cf4b819c5991fe208aaa96edf142730f1d)"
	.section	".note.GNU-stack","",@progbits
	.addrsig
	.addrsig_sym __hip_cuid_c4f44afbfa270204
	.amdgpu_metadata
---
amdhsa.kernels:
  - .args:
      - .actual_access:  read_only
        .address_space:  global
        .offset:         0
        .size:           8
        .value_kind:     global_buffer
      - .offset:         8
        .size:           8
        .value_kind:     by_value
      - .actual_access:  read_only
        .address_space:  global
        .offset:         16
        .size:           8
        .value_kind:     global_buffer
      - .actual_access:  read_only
        .address_space:  global
        .offset:         24
        .size:           8
        .value_kind:     global_buffer
      - .actual_access:  read_only
        .address_space:  global
        .offset:         32
        .size:           8
        .value_kind:     global_buffer
      - .offset:         40
        .size:           8
        .value_kind:     by_value
      - .actual_access:  read_only
        .address_space:  global
        .offset:         48
        .size:           8
        .value_kind:     global_buffer
      - .actual_access:  read_only
        .address_space:  global
        .offset:         56
        .size:           8
        .value_kind:     global_buffer
      - .offset:         64
        .size:           4
        .value_kind:     by_value
      - .actual_access:  read_only
        .address_space:  global
        .offset:         72
        .size:           8
        .value_kind:     global_buffer
      - .actual_access:  read_only
        .address_space:  global
        .offset:         80
        .size:           8
        .value_kind:     global_buffer
      - .actual_access:  read_only
        .address_space:  global
        .offset:         88
        .size:           8
        .value_kind:     global_buffer
      - .actual_access:  write_only
        .address_space:  global
        .offset:         96
        .size:           8
        .value_kind:     global_buffer
    .group_segment_fixed_size: 0
    .kernarg_segment_align: 8
    .kernarg_segment_size: 104
    .language:       OpenCL C
    .language_version:
      - 2
      - 0
    .max_flat_workgroup_size: 125
    .name:           fft_rtc_back_len3750_factors_3_5_5_10_5_wgs_125_tpt_125_halfLds_dp_op_CI_CI_unitstride_sbrr_R2C_dirReg
    .private_segment_fixed_size: 0
    .sgpr_count:     41
    .sgpr_spill_count: 0
    .symbol:         fft_rtc_back_len3750_factors_3_5_5_10_5_wgs_125_tpt_125_halfLds_dp_op_CI_CI_unitstride_sbrr_R2C_dirReg.kd
    .uniform_work_group_size: 1
    .uses_dynamic_stack: false
    .vgpr_count:     229
    .vgpr_spill_count: 0
    .wavefront_size: 32
    .workgroup_processor_mode: 1
amdhsa.target:   amdgcn-amd-amdhsa--gfx1201
amdhsa.version:
  - 1
  - 2
...

	.end_amdgpu_metadata
